;; amdgpu-corpus repo=ROCm/rocFFT kind=compiled arch=gfx950 opt=O3
	.text
	.amdgcn_target "amdgcn-amd-amdhsa--gfx950"
	.amdhsa_code_object_version 6
	.protected	bluestein_single_fwd_len1248_dim1_sp_op_CI_CI ; -- Begin function bluestein_single_fwd_len1248_dim1_sp_op_CI_CI
	.globl	bluestein_single_fwd_len1248_dim1_sp_op_CI_CI
	.p2align	8
	.type	bluestein_single_fwd_len1248_dim1_sp_op_CI_CI,@function
bluestein_single_fwd_len1248_dim1_sp_op_CI_CI: ; @bluestein_single_fwd_len1248_dim1_sp_op_CI_CI
; %bb.0:
	s_load_dwordx4 s[12:15], s[0:1], 0x28
	v_mul_u32_u24_e32 v1, 0x4ed, v0
	v_mov_b32_e32 v71, 0
	v_add_u32_sdwa v6, s2, v1 dst_sel:DWORD dst_unused:UNUSED_PAD src0_sel:DWORD src1_sel:WORD_1
	v_mov_b32_e32 v7, v71
	s_waitcnt lgkmcnt(0)
	v_cmp_gt_u64_e32 vcc, s[12:13], v[6:7]
	s_and_saveexec_b64 s[2:3], vcc
	s_cbranch_execz .LBB0_10
; %bb.1:
	s_load_dwordx4 s[4:7], s[0:1], 0x18
	s_load_dwordx4 s[8:11], s[0:1], 0x0
	v_mov_b32_e32 v2, s14
	v_mov_b32_e32 v3, s15
	;; [unrolled: 1-line block ×3, first 2 shown]
	s_waitcnt lgkmcnt(0)
	s_load_dwordx4 s[12:15], s[4:5], 0x0
	v_mul_lo_u16_sdwa v1, v1, v4 dst_sel:DWORD dst_unused:UNUSED_PAD src0_sel:WORD_1 src1_sel:DWORD
	v_sub_u16_e32 v70, v0, v1
	v_accvgpr_write_b32 a16, v6
	v_mov_b32_e32 v23, 0x1380
	s_waitcnt lgkmcnt(0)
	v_mad_u64_u32 v[0:1], s[2:3], s14, v6, 0
	v_mov_b32_e32 v4, v1
	v_mad_u64_u32 v[4:5], s[2:3], s15, v6, v[4:5]
	v_mad_u64_u32 v[6:7], s[2:3], s12, v70, 0
	v_mov_b32_e32 v1, v4
	v_mov_b32_e32 v4, v7
	v_mad_u64_u32 v[4:5], s[2:3], s13, v70, v[4:5]
	v_mov_b32_e32 v7, v4
	v_lshl_add_u64 v[4:5], v[0:1], 3, v[2:3]
	v_lshl_add_u64 v[2:3], v[6:7], 3, v[4:5]
	v_mad_u64_u32 v[8:9], s[2:3], s12, v23, v[2:3]
	v_lshlrev_b32_e32 v100, 3, v70
	v_mov_b32_e32 v101, v71
	s_mul_i32 s2, s13, 0x1380
	v_lshl_add_u64 v[0:1], s[8:9], 0, v[100:101]
	v_add_u32_e32 v9, s2, v9
	s_movk_i32 s3, 0x1000
	global_load_dwordx2 v[6:7], v[2:3], off
	global_load_dwordx2 v[10:11], v[8:9], off
	v_add_co_u32_e32 v2, vcc, s3, v0
	v_mov_b32_e32 v40, 0xffffee20
	s_mul_i32 s3, s13, 0xffffee20
	v_mad_u64_u32 v[12:13], s[4:5], s12, v40, v[8:9]
	s_sub_i32 s3, s3, s12
	v_addc_co_u32_e32 v3, vcc, 0, v1, vcc
	v_add_u32_e32 v13, s3, v13
	global_load_dwordx2 v[38:39], v100, s[8:9]
	global_load_dwordx2 v[36:37], v[2:3], off offset:896
	global_load_dwordx2 v[8:9], v[12:13], off
	global_load_dwordx2 v[34:35], v100, s[8:9] offset:416
	v_mad_u64_u32 v[12:13], s[4:5], s12, v23, v[12:13]
	v_add_u32_e32 v13, s2, v13
	v_mad_u64_u32 v[16:17], s[4:5], s12, v40, v[12:13]
	v_add_u32_e32 v17, s3, v17
	v_mad_u64_u32 v[18:19], s[4:5], s12, v23, v[16:17]
	v_add_u32_e32 v19, s2, v19
	global_load_dwordx2 v[32:33], v[2:3], off offset:1312
	v_add_u32_e32 v22, 0x1000, v100
	global_load_dwordx2 v[12:13], v[12:13], off
	s_nop 0
	global_load_dwordx2 v[14:15], v[16:17], off
	global_load_dwordx2 v[30:31], v100, s[8:9] offset:832
	s_nop 0
	global_load_dwordx2 v[16:17], v[18:19], off
	global_load_dwordx2 v[28:29], v[2:3], off offset:1728
	v_mad_u64_u32 v[18:19], s[4:5], s12, v40, v[18:19]
	v_add_u32_e32 v19, s3, v19
	global_load_dwordx2 v[26:27], v100, s[8:9] offset:1248
	global_load_dwordx2 v[20:21], v[18:19], off
	s_mov_b64 s[4:5], 0x68
	v_lshl_add_u64 v[80:81], v[70:71], 0, s[4:5]
	s_load_dwordx4 s[4:7], s[6:7], 0x0
	global_load_dwordx2 v[50:51], v[2:3], off offset:2144
	global_load_dwordx2 v[48:49], v[2:3], off offset:2976
	;; [unrolled: 1-line block ×5, first 2 shown]
	s_mov_b64 s[14:15], 0x9c
	v_lshl_add_u64 v[82:83], v[70:71], 0, s[14:15]
	v_lshl_add_u64 v[68:69], v[70:71], 0, 52
	v_and_b32_e32 v69, 1, v70
	v_accvgpr_write_b32 a84, v80
	v_accvgpr_write_b32 a86, v82
	global_load_dwordx2 v[78:79], v100, s[8:9] offset:1664
	s_waitcnt vmcnt(17)
	v_mul_f32_e32 v24, v7, v39
	v_mul_f32_e32 v25, v6, v39
	v_fmac_f32_e32 v24, v6, v38
	v_fma_f32 v25, v7, v38, -v25
	s_waitcnt vmcnt(16)
	v_mul_f32_e32 v6, v11, v37
	v_mul_f32_e32 v7, v10, v37
	v_fmac_f32_e32 v6, v10, v36
	v_fma_f32 v7, v11, v36, -v7
	ds_write_b64 v100, v[6:7] offset:4992
	s_waitcnt vmcnt(14)
	v_mul_f32_e32 v6, v9, v35
	v_mul_f32_e32 v7, v8, v35
	v_fmac_f32_e32 v6, v8, v34
	v_fma_f32 v7, v9, v34, -v7
	ds_write2_b64 v100, v[24:25], v[6:7] offset1:52
	s_waitcnt vmcnt(12)
	v_mul_f32_e32 v6, v13, v33
	v_mul_f32_e32 v7, v12, v33
	s_waitcnt vmcnt(8)
	v_mul_f32_e32 v10, v17, v29
	v_mul_f32_e32 v11, v16, v29
	v_fmac_f32_e32 v6, v12, v32
	v_fma_f32 v7, v13, v32, -v7
	v_fmac_f32_e32 v10, v16, v28
	v_fma_f32 v11, v17, v28, -v11
	ds_write2_b64 v22, v[6:7], v[10:11] offset0:164 offset1:216
	s_waitcnt vmcnt(6)
	v_mul_f32_e32 v6, v21, v27
	v_fmac_f32_e32 v6, v20, v26
	v_mul_f32_e32 v7, v20, v27
	v_or_b32_e32 v20, 0x340, v70
	v_mad_u64_u32 v[16:17], s[14:15], s12, v20, 0
	v_mad_u64_u32 v[10:11], s[14:15], s12, v23, v[18:19]
	v_mov_b32_e32 v18, v17
	v_mad_u64_u32 v[18:19], s[14:15], s13, v20, v[18:19]
	v_add_u32_e32 v11, s2, v11
	v_mov_b32_e32 v17, v18
	global_load_dwordx2 v[12:13], v[10:11], off
	v_mad_u64_u32 v[10:11], s[14:15], s12, v40, v[10:11]
	v_lshl_add_u64 v[4:5], v[16:17], 3, v[4:5]
	v_lshlrev_b32_e32 v16, 3, v20
	v_mul_f32_e32 v8, v15, v31
	v_mul_f32_e32 v9, v14, v31
	v_add_u32_e32 v11, s3, v11
	v_accvgpr_write_b32 a82, v16
	global_load_dwordx2 v[76:77], v16, s[8:9]
	v_mov_b32_e32 v16, 0x1a0
	v_fmac_f32_e32 v8, v14, v30
	v_fma_f32 v9, v15, v30, -v9
	global_load_dwordx2 v[14:15], v[10:11], off
	v_mad_u64_u32 v[10:11], s[14:15], s12, v16, v[10:11]
	s_mulk_i32 s13, 0x1a0
	v_add_u32_e32 v11, s13, v11
	global_load_dwordx2 v[16:17], v[10:11], off
	v_mad_u64_u32 v[10:11], s[14:15], s12, v23, v[10:11]
	v_add_u32_e32 v11, s2, v11
	global_load_dwordx2 v[4:5], v[4:5], off
	s_nop 0
	global_load_dwordx2 v[18:19], v[10:11], off
	global_load_dwordx2 v[74:75], v100, s[8:9] offset:2080
	v_mad_u64_u32 v[10:11], s[14:15], s12, v40, v[10:11]
	v_add_u32_e32 v11, s3, v11
	v_fma_f32 v7, v21, v26, -v7
	v_accvgpr_write_b32 a9, v20
	global_load_dwordx2 v[20:21], v[10:11], off
	v_mad_u64_u32 v[10:11], s[14:15], s12, v23, v[10:11]
	v_add_u32_e32 v11, s2, v11
	global_load_dwordx2 v[24:25], v[10:11], off
	v_mad_u64_u32 v[10:11], s[14:15], s12, v40, v[10:11]
	v_accvgpr_write_b32 a10, v26
	v_add_u32_e32 v11, s3, v11
	v_accvgpr_write_b32 a11, v27
	global_load_dwordx2 v[72:73], v100, s[8:9] offset:2496
	global_load_dwordx2 v[26:27], v[10:11], off
	global_load_dwordx2 v[66:67], v100, s[8:9] offset:2912
	v_mad_u64_u32 v[10:11], s[14:15], s12, v23, v[10:11]
	v_accvgpr_write_b32 a12, v28
	v_add_u32_e32 v11, s2, v11
	v_accvgpr_write_b32 a13, v29
	global_load_dwordx2 v[28:29], v[10:11], off
	global_load_dwordx2 v[64:65], v[2:3], off offset:3808
	v_mad_u64_u32 v[2:3], s[14:15], s12, v40, v[10:11]
	v_add_u32_e32 v3, s3, v3
	global_load_dwordx2 v[10:11], v[2:3], off
	global_load_dwordx2 v[62:63], v100, s[8:9] offset:3328
	v_mad_u64_u32 v[2:3], s[14:15], s12, v23, v[2:3]
	v_accvgpr_write_b32 a18, v30
	v_add_u32_e32 v3, s2, v3
	s_movk_i32 s13, 0x2000
	v_accvgpr_write_b32 a19, v31
	global_load_dwordx2 v[30:31], v[2:3], off
	v_add_co_u32_e32 v0, vcc, s13, v0
	v_mad_u64_u32 v[2:3], s[14:15], s12, v40, v[2:3]
	v_accvgpr_write_b32 a22, v32
	v_addc_co_u32_e32 v1, vcc, 0, v1, vcc
	v_add_u32_e32 v3, s3, v3
	v_accvgpr_write_b32 a23, v33
	global_load_dwordx2 v[60:61], v[0:1], off offset:128
	global_load_dwordx2 v[32:33], v[2:3], off
	global_load_dwordx2 v[58:59], v100, s[8:9] offset:3744
	v_mad_u64_u32 v[2:3], s[14:15], s12, v23, v[2:3]
	v_accvgpr_write_b32 a24, v34
	v_add_u32_e32 v3, s2, v3
	v_accvgpr_write_b32 a25, v35
	global_load_dwordx2 v[34:35], v[2:3], off
	global_load_dwordx2 v[56:57], v[0:1], off offset:544
	v_mad_u64_u32 v[2:3], s[14:15], s12, v40, v[2:3]
	v_accvgpr_write_b32 a26, v36
	v_add_u32_e32 v3, s3, v3
	v_accvgpr_write_b32 a27, v37
	global_load_dwordx2 v[36:37], v[2:3], off
	v_mad_u64_u32 v[2:3], s[14:15], s12, v23, v[2:3]
	v_accvgpr_write_b32 a30, v38
	v_add_u32_e32 v3, s2, v3
	v_accvgpr_write_b32 a31, v39
	global_load_dwordx2 v[38:39], v[2:3], off
	global_load_dwordx2 v[54:55], v[0:1], off offset:960
	v_mad_u64_u32 v[2:3], s[14:15], s12, v40, v[2:3]
	v_add_u32_e32 v3, s3, v3
	ds_write2_b64 v100, v[8:9], v[6:7] offset0:104 offset1:156
	global_load_dwordx2 v[8:9], v[2:3], off
	v_mad_u64_u32 v[2:3], s[12:13], s12, v23, v[2:3]
	v_add_u32_e32 v3, s2, v3
	global_load_dwordx2 v[40:41], v[2:3], off
	global_load_dwordx2 v[52:53], v[0:1], off offset:1376
	s_waitcnt vmcnt(27)
	v_mul_f32_e32 v6, v13, v51
	v_mul_f32_e32 v0, v12, v51
	v_fmac_f32_e32 v6, v12, v50
	v_fma_f32 v7, v13, v50, -v0
	s_waitcnt vmcnt(25)
	v_mul_f32_e32 v0, v14, v79
	v_mul_f32_e32 v2, v15, v79
	s_waitcnt vmcnt(23)
	v_mul_f32_e32 v12, v5, v77
	v_fma_f32 v3, v15, v78, -v0
	v_fmac_f32_e32 v12, v4, v76
	v_mul_f32_e32 v0, v4, v77
	s_waitcnt vmcnt(21)
	v_mul_f32_e32 v4, v17, v75
	v_mul_f32_e32 v1, v16, v75
	v_fmac_f32_e32 v2, v14, v78
	v_fma_f32 v13, v5, v76, -v0
	v_add_u32_e32 v0, 0x1800, v100
	v_fmac_f32_e32 v4, v16, v74
	v_fma_f32 v5, v17, v74, -v1
	v_add_u32_e32 v1, 0x400, v100
	ds_write2_b64 v0, v[6:7], v[12:13] offset0:12 offset1:64
	ds_write2_b64 v1, v[2:3], v[4:5] offset0:80 offset1:132
	v_mul_f32_e32 v2, v19, v49
	v_mul_f32_e32 v3, v18, v49
	s_waitcnt vmcnt(19)
	v_mul_f32_e32 v6, v25, v47
	v_mul_f32_e32 v7, v24, v47
	v_fmac_f32_e32 v2, v18, v48
	v_fma_f32 v3, v19, v48, -v3
	v_fmac_f32_e32 v6, v24, v46
	v_fma_f32 v7, v25, v46, -v7
	s_waitcnt vmcnt(18)
	v_mul_f32_e32 v4, v21, v73
	v_mul_f32_e32 v5, v20, v73
	ds_write2_b64 v0, v[2:3], v[6:7] offset0:116 offset1:168
	s_waitcnt vmcnt(16)
	v_mul_f32_e32 v6, v27, v67
	v_mul_f32_e32 v2, v26, v67
	v_fmac_f32_e32 v4, v20, v72
	v_fma_f32 v5, v21, v72, -v5
	v_fmac_f32_e32 v6, v26, v66
	v_fma_f32 v7, v27, v66, -v2
	v_add_u32_e32 v3, 0x800, v100
	s_waitcnt vmcnt(14)
	v_mul_f32_e32 v2, v28, v65
	ds_write2_b64 v3, v[4:5], v[6:7] offset0:56 offset1:108
	v_fma_f32 v5, v29, v64, -v2
	s_waitcnt vmcnt(12)
	v_mul_f32_e32 v6, v11, v63
	v_mul_f32_e32 v2, v10, v63
	;; [unrolled: 1-line block ×3, first 2 shown]
	v_fmac_f32_e32 v6, v10, v62
	v_fma_f32 v7, v11, v62, -v2
	v_fmac_f32_e32 v4, v28, v64
	v_add_u32_e32 v23, 0x2000, v100
	v_accvgpr_write_b32 a40, v64
	v_accvgpr_write_b32 a41, v65
	v_add_u32_e32 v64, 0x1400, v100
	s_waitcnt vmcnt(10)
	v_mul_f32_e32 v10, v31, v61
	v_mul_f32_e32 v2, v30, v61
	v_fmac_f32_e32 v10, v30, v60
	v_fma_f32 v11, v31, v60, -v2
	v_add_u32_e32 v2, 0x1c00, v100
	ds_write2_b64 v2, v[4:5], v[10:11] offset0:92 offset1:144
	s_waitcnt vmcnt(8)
	v_mul_f32_e32 v4, v33, v59
	v_mul_f32_e32 v5, v32, v59
	v_fmac_f32_e32 v4, v32, v58
	v_fma_f32 v5, v33, v58, -v5
	ds_write2_b64 v3, v[6:7], v[4:5] offset0:160 offset1:212
	s_waitcnt vmcnt(6)
	v_mul_f32_e32 v4, v35, v57
	v_mul_f32_e32 v5, v34, v57
	v_fmac_f32_e32 v4, v34, v56
	v_fma_f32 v5, v35, v56, -v5
	s_waitcnt vmcnt(5)
	v_mul_f32_e32 v6, v37, v45
	v_mul_f32_e32 v7, v36, v45
	v_fmac_f32_e32 v6, v36, v44
	v_fma_f32 v7, v37, v44, -v7
	;; [unrolled: 5-line block ×3, first 2 shown]
	ds_write2_b64 v23, v[4:5], v[10:11] offset0:68 offset1:120
	s_waitcnt vmcnt(2)
	v_mul_f32_e32 v4, v9, v43
	v_mul_f32_e32 v5, v8, v43
	v_fmac_f32_e32 v4, v8, v42
	v_fma_f32 v5, v9, v42, -v5
	ds_write2_b64 v22, v[6:7], v[4:5] offset0:8 offset1:60
	s_waitcnt vmcnt(0)
	v_mul_f32_e32 v4, v41, v53
	v_mul_f32_e32 v5, v40, v53
	v_fmac_f32_e32 v4, v40, v52
	v_fma_f32 v5, v41, v52, -v5
	ds_write_b64 v100, v[4:5] offset:9568
	s_waitcnt lgkmcnt(0)
	; wave barrier
	s_waitcnt lgkmcnt(0)
	ds_read2_b64 v[4:7], v100 offset1:52
	ds_read2_b64 v[8:11], v22 offset0:112 offset1:164
	ds_read2_b64 v[12:15], v100 offset0:104 offset1:156
	;; [unrolled: 1-line block ×3, first 2 shown]
	s_mov_b64 s[2:3], 0xd0
	v_accvgpr_write_b32 a0, v42
	s_waitcnt lgkmcnt(2)
	v_pk_add_f32 v[26:27], v[4:5], v[8:9] neg_lo:[0,1] neg_hi:[0,1]
	v_pk_add_f32 v[8:9], v[6:7], v[10:11] neg_lo:[0,1] neg_hi:[0,1]
	s_waitcnt lgkmcnt(0)
	v_pk_add_f32 v[30:31], v[12:13], v[16:17] neg_lo:[0,1] neg_hi:[0,1]
	v_pk_add_f32 v[16:17], v[14:15], v[18:19] neg_lo:[0,1] neg_hi:[0,1]
	v_pk_fma_f32 v[28:29], v[12:13], 2.0, v[30:31] op_sel_hi:[1,0,1] neg_lo:[0,0,1] neg_hi:[0,0,1]
	ds_read2_b64 v[10:13], v1 offset0:80 offset1:132
	ds_read2_b64 v[32:35], v0 offset0:64 offset1:116
	ds_read2_b64 v[18:21], v3 offset0:56 offset1:108
	ds_read2_b64 v[36:39], v0 offset0:168 offset1:220
	v_accvgpr_write_b32 a14, v50
	v_lshl_add_u64 v[84:85], v[70:71], 0, s[2:3]
	v_accvgpr_write_b32 a6, v48
	s_waitcnt lgkmcnt(2)
	v_pk_add_f32 v[34:35], v[12:13], v[34:35] neg_lo:[0,1] neg_hi:[0,1]
	v_accvgpr_write_b32 a4, v46
	v_accvgpr_write_b32 a2, v44
	;; [unrolled: 1-line block ×5, first 2 shown]
	s_mov_b64 s[2:3], 0x104
	v_pk_add_f32 v[42:43], v[10:11], v[32:33] neg_lo:[0,1] neg_hi:[0,1]
	v_pk_fma_f32 v[32:33], v[12:13], 2.0, v[34:35] op_sel_hi:[1,0,1] neg_lo:[0,0,1] neg_hi:[0,0,1]
	s_waitcnt lgkmcnt(0)
	v_pk_add_f32 v[12:13], v[18:19], v[36:37] neg_lo:[0,1] neg_hi:[0,1]
	v_pk_add_f32 v[38:39], v[20:21], v[38:39] neg_lo:[0,1] neg_hi:[0,1]
	v_accvgpr_write_b32 a15, v51
	v_accvgpr_write_b32 a50, v78
	;; [unrolled: 1-line block ×7, first 2 shown]
	v_pk_fma_f32 v[40:41], v[10:11], 2.0, v[42:43] op_sel_hi:[1,0,1] neg_lo:[0,0,1] neg_hi:[0,0,1]
	v_pk_fma_f32 v[10:11], v[18:19], 2.0, v[12:13] op_sel_hi:[1,0,1] neg_lo:[0,0,1] neg_hi:[0,0,1]
	ds_read2_b64 v[44:47], v3 offset0:160 offset1:212
	ds_read2_b64 v[48:51], v23 offset0:16 offset1:68
	v_pk_fma_f32 v[36:37], v[20:21], 2.0, v[38:39] op_sel_hi:[1,0,1] neg_lo:[0,0,1] neg_hi:[0,0,1]
	ds_read2_b64 v[18:21], v22 offset0:8 offset1:60
	ds_read2_b64 v[52:55], v23 offset0:120 offset1:172
	v_lshl_add_u64 v[86:87], v[70:71], 0, s[2:3]
	s_mov_b64 s[2:3], 0x138
	v_accvgpr_write_b32 a51, v79
	v_accvgpr_write_b32 a48, v76
	v_pk_fma_f32 v[24:25], v[4:5], 2.0, v[26:27] op_sel_hi:[1,0,1] neg_lo:[0,0,1] neg_hi:[0,0,1]
	v_lshl_add_u64 v[78:79], v[70:71], 0, s[2:3]
	s_mov_b64 s[2:3], 0x16c
	v_lshlrev_b32_e32 v4, 4, v70
	v_accvgpr_write_b32 a49, v77
	v_pk_fma_f32 v[6:7], v[6:7], 2.0, v[8:9] op_sel_hi:[1,0,1] neg_lo:[0,0,1] neg_hi:[0,0,1]
	s_waitcnt lgkmcnt(0)
	; wave barrier
	s_waitcnt lgkmcnt(0)
	v_accvgpr_write_b32 a70, v4
	ds_write_b128 v4, v[24:27]
	v_lshl_add_u64 v[76:77], v[70:71], 0, s[2:3]
	s_mov_b64 s[2:3], 0x1a0
	v_lshlrev_b32_e32 v4, 4, v68
	v_accvgpr_write_b32 a61, v4
	ds_write_b128 v4, v[6:9]
	v_lshl_add_u64 v[88:89], v[70:71], 0, s[2:3]
	s_mov_b64 s[2:3], 0x1d4
	v_lshlrev_b32_e32 v4, 4, v80
	v_accvgpr_write_b32 a34, v58
	v_pk_fma_f32 v[14:15], v[14:15], 2.0, v[16:17] op_sel_hi:[1,0,1] neg_lo:[0,0,1] neg_hi:[0,0,1]
	v_lshl_add_u64 v[90:91], v[70:71], 0, s[2:3]
	s_mov_b64 s[2:3], 0x208
	v_accvgpr_write_b32 a64, v4
	ds_write_b128 v4, v[28:31]
	v_lshlrev_b32_e32 v4, 4, v82
	v_accvgpr_write_b32 a38, v62
	v_accvgpr_write_b32 a35, v59
	v_accvgpr_write_b32 a32, v56
	v_pk_add_f32 v[58:59], v[44:45], v[48:49] neg_lo:[0,1] neg_hi:[0,1]
	v_pk_add_f32 v[48:49], v[46:47], v[50:51] neg_lo:[0,1] neg_hi:[0,1]
	v_pk_add_f32 v[52:53], v[18:19], v[52:53] neg_lo:[0,1] neg_hi:[0,1]
	v_lshl_add_u64 v[92:93], v[70:71], 0, s[2:3]
	s_mov_b64 s[2:3], 0x23c
	v_accvgpr_write_b32 a66, v4
	ds_write_b128 v4, v[14:17]
	v_lshlrev_b32_e32 v4, 4, v84
	v_accvgpr_write_b32 a39, v63
	v_accvgpr_write_b32 a36, v60
	;; [unrolled: 1-line block ×3, first 2 shown]
	v_pk_fma_f32 v[56:57], v[44:45], 2.0, v[58:59] op_sel_hi:[1,0,1] neg_lo:[0,0,1] neg_hi:[0,0,1]
	v_pk_fma_f32 v[46:47], v[46:47], 2.0, v[48:49] op_sel_hi:[1,0,1] neg_lo:[0,0,1] neg_hi:[0,0,1]
	v_pk_fma_f32 v[50:51], v[18:19], 2.0, v[52:53] op_sel_hi:[1,0,1] neg_lo:[0,0,1] neg_hi:[0,0,1]
	v_pk_add_f32 v[62:63], v[20:21], v[54:55] neg_lo:[0,1] neg_hi:[0,1]
	v_lshl_add_u64 v[102:103], v[70:71], 0, s[2:3]
	v_lshlrev_b32_e32 v5, 4, v86
	v_lshlrev_b32_e32 v8, 4, v78
	v_accvgpr_write_b32 a67, v4
	ds_write_b128 v4, v[40:43]
	v_lshlrev_b32_e32 v9, 4, v76
	v_lshlrev_b32_e32 v7, 4, v88
	;; [unrolled: 1-line block ×4, first 2 shown]
	v_accvgpr_write_b32 a44, v72
	v_accvgpr_write_b32 a37, v61
	v_pk_fma_f32 v[60:61], v[20:21], 2.0, v[62:63] op_sel_hi:[1,0,1] neg_lo:[0,0,1] neg_hi:[0,0,1]
	v_accvgpr_write_b32 a65, v5
	ds_write_b128 v5, v[32:35]
	v_lshlrev_b32_e32 v5, 4, v102
	ds_write_b128 v8, v[10:13]
	ds_write_b128 v9, v[36:39]
	;; [unrolled: 1-line block ×4, first 2 shown]
	v_accvgpr_write_b32 a53, v4
	ds_write_b128 v4, v[50:53]
	v_lshlrev_b32_e32 v4, 3, v69
	v_accvgpr_write_b32 a45, v73
	ds_write_b128 v5, v[60:63]
	s_waitcnt lgkmcnt(0)
	; wave barrier
	s_waitcnt lgkmcnt(0)
	global_load_dwordx2 v[72:73], v4, s[10:11]
	v_accvgpr_write_b32 a60, v7
	v_accvgpr_write_b32 a57, v6
	;; [unrolled: 1-line block ×3, first 2 shown]
	ds_read2_b64 v[4:7], v0 offset0:168 offset1:220
	v_accvgpr_write_b32 a62, v8
	v_accvgpr_write_b32 a63, v9
	ds_read2_b64 v[8:11], v23 offset0:16 offset1:68
	v_accvgpr_write_b32 a46, v74
	v_accvgpr_write_b32 a42, v66
	;; [unrolled: 1-line block ×4, first 2 shown]
	s_movk_i32 s2, 0x7c
	s_movk_i32 s3, 0x2fc
	v_accvgpr_write_b32 a88, v84
	v_accvgpr_write_b32 a96, v86
	;; [unrolled: 1-line block ×8, first 2 shown]
	v_cmp_gt_u16_e32 vcc, 44, v70
	s_waitcnt vmcnt(0) lgkmcnt(1)
	v_pk_mul_f32 v[12:13], v[4:5], v[72:73] op_sel:[0,1]
	s_nop 0
	v_pk_fma_f32 v[20:21], v[4:5], v[72:73], v[12:13] op_sel:[0,0,1] op_sel_hi:[1,1,0] neg_lo:[0,0,1] neg_hi:[0,0,1]
	v_pk_fma_f32 v[32:33], v[4:5], v[72:73], v[12:13] op_sel:[0,0,1] op_sel_hi:[1,0,0]
	v_pk_mul_f32 v[4:5], v[6:7], v[72:73] op_sel:[0,1]
	s_waitcnt lgkmcnt(0)
	v_pk_mul_f32 v[12:13], v[8:9], v[72:73] op_sel:[0,1]
	v_pk_fma_f32 v[34:35], v[6:7], v[72:73], v[4:5] op_sel:[0,0,1] op_sel_hi:[1,1,0] neg_lo:[0,0,1] neg_hi:[0,0,1]
	v_pk_fma_f32 v[36:37], v[6:7], v[72:73], v[4:5] op_sel:[0,0,1] op_sel_hi:[1,0,0]
	ds_read2_b64 v[4:7], v23 offset0:120 offset1:172
	v_pk_fma_f32 v[38:39], v[8:9], v[72:73], v[12:13] op_sel:[0,0,1] op_sel_hi:[1,1,0] neg_lo:[0,0,1] neg_hi:[0,0,1]
	v_pk_fma_f32 v[40:41], v[8:9], v[72:73], v[12:13] op_sel:[0,0,1] op_sel_hi:[1,0,0]
	v_pk_mul_f32 v[8:9], v[10:11], v[72:73] op_sel:[0,1]
	v_mov_b32_e32 v35, v37
	v_pk_fma_f32 v[42:43], v[10:11], v[72:73], v[8:9] op_sel:[0,0,1] op_sel_hi:[1,1,0] neg_lo:[0,0,1] neg_hi:[0,0,1]
	v_pk_fma_f32 v[44:45], v[10:11], v[72:73], v[8:9] op_sel:[0,0,1] op_sel_hi:[1,0,0]
	ds_read2_b64 v[8:11], v0 offset0:64 offset1:116
	s_waitcnt lgkmcnt(1)
	v_pk_mul_f32 v[12:13], v[4:5], v[72:73] op_sel:[0,1]
	v_mov_b32_e32 v39, v41
	v_pk_fma_f32 v[46:47], v[4:5], v[72:73], v[12:13] op_sel:[0,0,1] op_sel_hi:[1,1,0] neg_lo:[0,0,1] neg_hi:[0,0,1]
	v_pk_fma_f32 v[48:49], v[4:5], v[72:73], v[12:13] op_sel:[0,0,1] op_sel_hi:[1,0,0]
	v_pk_mul_f32 v[4:5], v[6:7], v[72:73] op_sel:[0,1]
	s_waitcnt lgkmcnt(0)
	v_pk_mul_f32 v[12:13], v[10:11], v[72:73] op_sel:[0,1]
	v_pk_fma_f32 v[50:51], v[6:7], v[72:73], v[4:5] op_sel:[0,0,1] op_sel_hi:[1,1,0] neg_lo:[0,0,1] neg_hi:[0,0,1]
	v_pk_fma_f32 v[52:53], v[6:7], v[72:73], v[4:5] op_sel:[0,0,1] op_sel_hi:[1,0,0]
	ds_read2_b64 v[4:7], v64 offset0:88 offset1:140
	v_pk_fma_f32 v[54:55], v[10:11], v[72:73], v[12:13] op_sel:[0,0,1] op_sel_hi:[1,1,0] neg_lo:[0,0,1] neg_hi:[0,0,1]
	v_pk_fma_f32 v[56:57], v[10:11], v[72:73], v[12:13] op_sel:[0,0,1] op_sel_hi:[1,0,0]
	v_pk_mul_f32 v[10:11], v[8:9], v[72:73] op_sel:[0,1]
	v_mov_b32_e32 v55, v57
	v_pk_fma_f32 v[58:59], v[8:9], v[72:73], v[10:11] op_sel:[0,0,1] op_sel_hi:[1,1,0] neg_lo:[0,0,1] neg_hi:[0,0,1]
	v_pk_fma_f32 v[60:61], v[8:9], v[72:73], v[10:11] op_sel:[0,0,1] op_sel_hi:[1,0,0]
	ds_read2_b64 v[8:11], v22 offset0:112 offset1:164
	s_waitcnt lgkmcnt(1)
	v_pk_mul_f32 v[12:13], v[6:7], v[72:73] op_sel:[0,1]
	v_mov_b32_e32 v59, v61
	v_pk_fma_f32 v[62:63], v[6:7], v[72:73], v[12:13] op_sel:[0,0,1] op_sel_hi:[1,1,0] neg_lo:[0,0,1] neg_hi:[0,0,1]
	v_pk_fma_f32 v[64:65], v[6:7], v[72:73], v[12:13] op_sel:[0,0,1] op_sel_hi:[1,0,0]
	v_pk_mul_f32 v[6:7], v[4:5], v[72:73] op_sel:[0,1]
	v_mov_b32_e32 v63, v65
	v_pk_fma_f32 v[66:67], v[4:5], v[72:73], v[6:7] op_sel:[0,0,1] op_sel_hi:[1,1,0] neg_lo:[0,0,1] neg_hi:[0,0,1]
	v_pk_fma_f32 v[74:75], v[4:5], v[72:73], v[6:7] op_sel:[0,0,1] op_sel_hi:[1,0,0]
	s_waitcnt lgkmcnt(0)
	v_pk_mul_f32 v[4:5], v[10:11], v[72:73] op_sel:[0,1]
	v_mov_b32_e32 v67, v75
	v_pk_fma_f32 v[94:95], v[10:11], v[72:73], v[4:5] op_sel:[0,0,1] op_sel_hi:[1,1,0] neg_lo:[0,0,1] neg_hi:[0,0,1]
	v_pk_fma_f32 v[96:97], v[10:11], v[72:73], v[4:5] op_sel:[0,0,1] op_sel_hi:[1,0,0]
	v_pk_mul_f32 v[4:5], v[8:9], v[72:73] op_sel:[0,1]
	v_mov_b32_e32 v95, v97
	v_pk_fma_f32 v[10:11], v[8:9], v[72:73], v[4:5] op_sel:[0,0,1] op_sel_hi:[1,1,0] neg_lo:[0,0,1] neg_hi:[0,0,1]
	v_pk_fma_f32 v[4:5], v[8:9], v[72:73], v[4:5] op_sel:[0,0,1] op_sel_hi:[1,0,0]
	v_lshlrev_b32_e32 v8, 1, v70
	v_mov_b32_e32 v11, v5
	ds_read2_b64 v[4:7], v100 offset1:52
	v_accvgpr_write_b32 a91, v8
	v_and_or_b32 v8, v8, s2, v69
	v_lshlrev_b32_e32 v21, 3, v8
	v_accvgpr_write_b32 a59, v21
	s_waitcnt lgkmcnt(0)
	v_pk_add_f32 v[98:99], v[4:5], v[10:11] neg_lo:[0,1] neg_hi:[0,1]
	ds_read2_b64 v[8:11], v3 offset0:56 offset1:108
	ds_read2_b64 v[12:15], v3 offset0:160 offset1:212
	ds_read2_b64 v[16:19], v22 offset0:8 offset1:60
	ds_read2_b64 v[24:27], v1 offset0:80 offset1:132
	ds_read2_b64 v[28:31], v100 offset0:104 offset1:156
	v_pk_fma_f32 v[4:5], v[4:5], 2.0, v[98:99] op_sel_hi:[1,0,1] neg_lo:[0,0,1] neg_hi:[0,0,1]
	s_waitcnt lgkmcnt(0)
	; wave barrier
	s_waitcnt lgkmcnt(0)
	ds_write2_b64 v21, v[4:5], v[98:99] offset1:2
	s_movk_i32 s2, 0xfc
	v_lshlrev_b32_e32 v21, 1, v68
	v_pk_add_f32 v[4:5], v[6:7], v[94:95] neg_lo:[0,1] neg_hi:[0,1]
	v_and_or_b32 v21, v21, s2, v69
	v_pk_fma_f32 v[6:7], v[6:7], 2.0, v[4:5] op_sel_hi:[1,0,1] neg_lo:[0,0,1] neg_hi:[0,0,1]
	v_lshlrev_b32_e32 v21, 3, v21
	ds_write2_b64 v21, v[6:7], v[4:5] offset1:2
	s_movk_i32 s2, 0x1fc
	v_lshlrev_b32_e32 v4, 1, v80
	v_and_or_b32 v4, v4, s2, v69
	v_accvgpr_write_b32 a68, v21
	v_lshlrev_b32_e32 v21, 3, v4
	v_pk_add_f32 v[4:5], v[28:29], v[66:67] neg_lo:[0,1] neg_hi:[0,1]
	v_accvgpr_write_b32 a69, v21
	v_pk_fma_f32 v[6:7], v[28:29], 2.0, v[4:5] op_sel_hi:[1,0,1] neg_lo:[0,0,1] neg_hi:[0,0,1]
	ds_write2_b64 v21, v[6:7], v[4:5] offset1:2
	v_lshlrev_b32_e32 v21, 1, v82
	v_pk_add_f32 v[4:5], v[30:31], v[62:63] neg_lo:[0,1] neg_hi:[0,1]
	v_and_or_b32 v21, v21, s2, v69
	v_pk_fma_f32 v[6:7], v[30:31], 2.0, v[4:5] op_sel_hi:[1,0,1] neg_lo:[0,0,1] neg_hi:[0,0,1]
	v_lshlrev_b32_e32 v21, 3, v21
	ds_write2_b64 v21, v[6:7], v[4:5] offset1:2
	s_movk_i32 s2, 0x3fc
	v_lshlrev_b32_e32 v4, 1, v84
	v_and_or_b32 v4, v4, s2, v69
	v_accvgpr_write_b32 a71, v21
	v_lshlrev_b32_e32 v21, 3, v4
	v_pk_add_f32 v[4:5], v[24:25], v[58:59] neg_lo:[0,1] neg_hi:[0,1]
	v_accvgpr_write_b32 a72, v21
	v_pk_fma_f32 v[6:7], v[24:25], 2.0, v[4:5] op_sel_hi:[1,0,1] neg_lo:[0,0,1] neg_hi:[0,0,1]
	ds_write2_b64 v21, v[6:7], v[4:5] offset1:2
	v_lshlrev_b32_e32 v21, 1, v86
	v_pk_add_f32 v[4:5], v[26:27], v[54:55] neg_lo:[0,1] neg_hi:[0,1]
	v_and_or_b32 v21, v21, s3, v69
	v_pk_fma_f32 v[6:7], v[26:27], 2.0, v[4:5] op_sel_hi:[1,0,1] neg_lo:[0,0,1] neg_hi:[0,0,1]
	v_lshlrev_b32_e32 v21, 3, v21
	v_accvgpr_write_b32 a73, v21
	ds_write2_b64 v21, v[6:7], v[4:5] offset1:2
	v_mov_b32_e32 v21, v33
	v_lshlrev_b32_e32 v6, 1, v78
	v_pk_add_f32 v[24:25], v[8:9], v[20:21] neg_lo:[0,1] neg_hi:[0,1]
	v_and_or_b32 v6, v6, s3, v69
	v_pk_fma_f32 v[4:5], v[8:9], 2.0, v[24:25] op_sel_hi:[1,0,1] neg_lo:[0,0,1] neg_hi:[0,0,1]
	v_lshlrev_b32_e32 v6, 3, v6
	ds_write2_b64 v6, v[4:5], v[24:25] offset1:2
	v_lshlrev_b32_e32 v4, 1, v76
	v_pk_add_f32 v[64:65], v[10:11], v[34:35] neg_lo:[0,1] neg_hi:[0,1]
	v_and_or_b32 v4, v4, s2, v69
	v_lshlrev_b32_e32 v5, 1, v88
	v_mov_b32_e32 v43, v45
	v_pk_add_f32 v[60:61], v[12:13], v[38:39] neg_lo:[0,1] neg_hi:[0,1]
	v_pk_fma_f32 v[26:27], v[10:11], 2.0, v[64:65] op_sel_hi:[1,0,1] neg_lo:[0,0,1] neg_hi:[0,0,1]
	v_accvgpr_write_b32 a74, v6
	v_and_or_b32 v5, v5, s2, v69
	s_movk_i32 s2, 0x7fc
	v_lshlrev_b32_e32 v6, 1, v90
	v_lshlrev_b32_e32 v4, 3, v4
	v_mov_b32_e32 v47, v49
	v_pk_add_f32 v[56:57], v[14:15], v[42:43] neg_lo:[0,1] neg_hi:[0,1]
	v_pk_fma_f32 v[66:67], v[12:13], 2.0, v[60:61] op_sel_hi:[1,0,1] neg_lo:[0,0,1] neg_hi:[0,0,1]
	v_and_or_b32 v6, v6, s2, v69
	s_movk_i32 s2, 0x4fc
	v_lshlrev_b32_e32 v7, 1, v92
	v_accvgpr_write_b32 a75, v4
	ds_write2_b64 v4, v[26:27], v[64:65] offset1:2
	v_lshlrev_b32_e32 v4, 3, v5
	v_mov_b32_e32 v51, v53
	v_pk_add_f32 v[52:53], v[16:17], v[46:47] neg_lo:[0,1] neg_hi:[0,1]
	v_pk_fma_f32 v[62:63], v[14:15], 2.0, v[56:57] op_sel_hi:[1,0,1] neg_lo:[0,0,1] neg_hi:[0,0,1]
	v_and_or_b32 v7, v7, s2, v69
	v_lshlrev_b32_e32 v8, 1, v102
	v_accvgpr_write_b32 a78, v4
	ds_write2_b64 v4, v[66:67], v[60:61] offset1:2
	v_lshlrev_b32_e32 v4, 3, v6
	v_pk_add_f32 v[48:49], v[18:19], v[50:51] neg_lo:[0,1] neg_hi:[0,1]
	v_pk_fma_f32 v[58:59], v[16:17], 2.0, v[52:53] op_sel_hi:[1,0,1] neg_lo:[0,0,1] neg_hi:[0,0,1]
	v_and_or_b32 v8, v8, s2, v69
	v_accvgpr_write_b32 a79, v4
	ds_write2_b64 v4, v[62:63], v[56:57] offset1:2
	v_lshlrev_b32_e32 v4, 3, v7
	v_pk_fma_f32 v[54:55], v[18:19], 2.0, v[48:49] op_sel_hi:[1,0,1] neg_lo:[0,0,1] neg_hi:[0,0,1]
	v_accvgpr_write_b32 a80, v4
	ds_write2_b64 v4, v[58:59], v[52:53] offset1:2
	v_lshlrev_b32_e32 v4, 3, v8
	ds_write2_b64 v4, v[54:55], v[48:49] offset1:2
	s_waitcnt lgkmcnt(0)
	; wave barrier
	s_waitcnt lgkmcnt(0)
	ds_read_b64 v[186:187], v100 offset:9216
	ds_read2_b64 v[44:47], v3 offset0:128 offset1:224
	ds_read2_b64 v[28:31], v100 offset1:96
	ds_read2_b64 v[16:19], v1 offset0:64 offset1:160
	ds_read2_b64 v[40:43], v22 offset0:64 offset1:160
	ds_read2_b64 v[36:39], v0 offset1:96
	ds_read2_b64 v[32:35], v2 offset0:64 offset1:160
	s_load_dwordx2 s[2:3], s[0:1], 0x38
	v_accvgpr_write_b32 a81, v4
                                        ; implicit-def: $vgpr98
                                        ; implicit-def: $vgpr96
                                        ; implicit-def: $vgpr102
	s_and_saveexec_b64 s[0:1], vcc
	s_cbranch_execz .LBB0_3
; %bb.2:
	ds_read2_b64 v[24:27], v100 offset0:52 offset1:148
	ds_read2_b64 v[64:67], v1 offset0:116 offset1:212
	v_add_u32_e32 v1, 0xc00, v100
	ds_read2_b64 v[60:63], v1 offset0:52 offset1:148
	ds_read2_b64 v[56:59], v22 offset0:116 offset1:212
	;; [unrolled: 1-line block ×3, first 2 shown]
	ds_read_b64 v[96:97], v100 offset:9632
	ds_read2_b64 v[52:55], v0 offset0:52 offset1:148
	s_waitcnt lgkmcnt(0)
	v_mov_b32_e32 v98, v51
	v_mov_b32_e32 v102, v97
.LBB0_3:
	s_or_b64 exec, exec, s[0:1]
	v_and_b32_e32 v71, 3, v70
	v_mul_u32_u24_e32 v0, 12, v71
	v_lshlrev_b32_e32 v20, 3, v0
	global_load_dwordx4 v[8:11], v20, s[10:11] offset:64
	global_load_dwordx4 v[4:7], v20, s[10:11] offset:48
	;; [unrolled: 1-line block ×4, first 2 shown]
	s_mov_b32 s14, 0xbf52af12
	s_mov_b32 s0, 0x3f116cb1
	;; [unrolled: 1-line block ×25, first 2 shown]
	v_accvgpr_write_b32 a8, v70
	v_accvgpr_write_b32 a17, v71
	v_mov_b32_e32 v74, v72
	v_mov_b32_e32 v75, v72
	;; [unrolled: 1-line block ×4, first 2 shown]
	s_waitcnt vmcnt(3)
	v_accvgpr_write_b32 a52, v9
	s_waitcnt vmcnt(1) lgkmcnt(0)
	v_mul_f32_e32 v203, v18, v1
	s_waitcnt vmcnt(0)
	v_mul_f32_e32 v21, v31, v13
	v_fma_f32 v77, v30, v12, -v21
	v_mul_f32_e32 v21, v17, v15
	v_fma_f32 v204, v16, v14, -v21
	v_mul_f32_e32 v205, v16, v15
	v_mul_f32_e32 v16, v19, v1
	v_fmac_f32_e32 v205, v17, v14
	v_fma_f32 v202, v18, v0, -v16
	v_fmac_f32_e32 v203, v19, v0
	global_load_dwordx4 v[16:19], v20, s[10:11] offset:96
	v_mul_f32_e32 v79, v30, v13
	global_load_dwordx4 v[20:23], v20, s[10:11] offset:80
	v_fmac_f32_e32 v79, v31, v12
	v_pk_mul_f32 v[30:31], v[26:27], v[12:13] op_sel:[1,0]
	v_add_f32_e32 v238, v28, v77
	v_pk_fma_f32 v[160:161], v[26:27], v[12:13], v[30:31] op_sel:[0,0,1] op_sel_hi:[1,1,0] neg_lo:[0,0,1] neg_hi:[0,0,1]
	v_pk_fma_f32 v[26:27], v[26:27], v[12:13], v[30:31] op_sel:[0,0,1] op_sel_hi:[0,1,0]
	v_mov_b32_e32 v161, v27
	v_pk_mul_f32 v[26:27], v[64:65], v[14:15] op_sel:[1,0]
	v_add_f32_e32 v239, v29, v79
	v_pk_fma_f32 v[94:95], v[64:65], v[14:15], v[26:27] op_sel:[0,0,1] op_sel_hi:[1,1,0] neg_lo:[0,0,1] neg_hi:[0,0,1]
	v_pk_fma_f32 v[26:27], v[64:65], v[14:15], v[26:27] op_sel:[0,0,1] op_sel_hi:[0,1,0]
	v_mov_b32_e32 v95, v27
	v_pk_mul_f32 v[26:27], v[66:67], v[0:1] op_sel:[1,0]
	v_pk_add_f32 v[108:109], v[238:239], v[204:205]
	v_pk_fma_f32 v[64:65], v[66:67], v[0:1], v[26:27] op_sel:[0,0,1] op_sel_hi:[1,1,0] neg_lo:[0,0,1] neg_hi:[0,0,1]
	v_pk_fma_f32 v[26:27], v[66:67], v[0:1], v[26:27] op_sel:[0,0,1] op_sel_hi:[0,1,0]
	v_mov_b32_e32 v65, v27
	v_pk_mul_f32 v[26:27], v[60:61], v[2:3] op_sel:[1,0]
	v_pk_add_f32 v[108:109], v[108:109], v[202:203]
	v_pk_fma_f32 v[66:67], v[60:61], v[2:3], v[26:27] op_sel:[0,0,1] op_sel_hi:[1,1,0] neg_lo:[0,0,1] neg_hi:[0,0,1]
	v_pk_fma_f32 v[26:27], v[60:61], v[2:3], v[26:27] op_sel:[0,0,1] op_sel_hi:[0,1,0]
	v_mov_b32_e32 v67, v27
	v_pk_mul_f32 v[26:27], v[62:63], v[4:5] op_sel:[1,0]
	s_nop 0
	v_pk_fma_f32 v[60:61], v[62:63], v[4:5], v[26:27] op_sel:[0,0,1] op_sel_hi:[1,1,0] neg_lo:[0,0,1] neg_hi:[0,0,1]
	v_pk_fma_f32 v[26:27], v[62:63], v[4:5], v[26:27] op_sel:[0,0,1] op_sel_hi:[0,1,0]
	v_mov_b32_e32 v61, v27
	v_pk_mul_f32 v[26:27], v[56:57], v[6:7] op_sel:[1,0]
	; wave barrier
	s_nop 0
	v_pk_fma_f32 v[62:63], v[56:57], v[6:7], v[26:27] op_sel:[0,0,1] op_sel_hi:[1,1,0] neg_lo:[0,0,1] neg_hi:[0,0,1]
	v_pk_fma_f32 v[26:27], v[56:57], v[6:7], v[26:27] op_sel:[0,0,1] op_sel_hi:[0,1,0]
	v_mov_b32_e32 v63, v27
	v_pk_mul_f32 v[26:27], v[58:59], v[8:9] op_sel:[1,0]
	v_accvgpr_write_b32 a54, v5
	v_pk_fma_f32 v[56:57], v[58:59], v[8:9], v[26:27] op_sel:[0,0,1] op_sel_hi:[1,1,0] neg_lo:[0,0,1] neg_hi:[0,0,1]
	v_pk_fma_f32 v[26:27], v[58:59], v[8:9], v[26:27] op_sel:[0,0,1] op_sel_hi:[0,1,0]
	v_mov_b32_e32 v57, v27
	v_pk_mul_f32 v[26:27], v[52:53], v[10:11] op_sel:[1,0]
	v_pk_add_f32 v[184:185], v[62:63], v[56:57]
	v_pk_fma_f32 v[58:59], v[52:53], v[10:11], v[26:27] op_sel:[0,0,1] op_sel_hi:[1,1,0] neg_lo:[0,0,1] neg_hi:[0,0,1]
	v_pk_fma_f32 v[26:27], v[52:53], v[10:11], v[26:27] op_sel:[0,0,1] op_sel_hi:[0,1,0]
	v_mov_b32_e32 v59, v27
	v_pk_add_f32 v[90:91], v[60:61], v[58:59] neg_lo:[0,1] neg_hi:[0,1]
	v_pk_add_f32 v[182:183], v[60:61], v[58:59]
	v_accvgpr_write_b32 a115, v91
	v_accvgpr_write_b32 a114, v90
	s_waitcnt vmcnt(1)
	v_accvgpr_write_b32 a56, v17
	s_waitcnt vmcnt(0)
	v_pk_mul_f32 v[26:27], v[54:55], v[20:21] op_sel:[1,0]
	s_nop 0
	v_pk_fma_f32 v[52:53], v[54:55], v[20:21], v[26:27] op_sel:[0,0,1] op_sel_hi:[1,1,0] neg_lo:[0,0,1] neg_hi:[0,0,1]
	v_pk_fma_f32 v[26:27], v[54:55], v[20:21], v[26:27] op_sel:[0,0,1] op_sel_hi:[0,1,0]
	v_mov_b32_e32 v53, v27
	v_pk_mul_f32 v[26:27], v[48:49], v[22:23] op_sel:[1,0]
	v_pk_add_f32 v[88:89], v[66:67], v[52:53] neg_lo:[0,1] neg_hi:[0,1]
	v_pk_fma_f32 v[54:55], v[48:49], v[22:23], v[26:27] op_sel:[0,0,1] op_sel_hi:[1,1,0] neg_lo:[0,0,1] neg_hi:[0,0,1]
	v_pk_fma_f32 v[26:27], v[48:49], v[22:23], v[26:27] op_sel:[0,0,1] op_sel_hi:[0,1,0]
	v_mov_b32_e32 v55, v27
	v_pk_mul_f32 v[26:27], v[98:99], v[16:17] op_sel_hi:[0,1]
	v_pk_fma_f32 v[48:49], v[50:51], v[16:17], v[26:27] op_sel:[0,0,1] op_sel_hi:[1,1,0] neg_lo:[0,0,1] neg_hi:[0,0,1]
	v_pk_fma_f32 v[26:27], v[50:51], v[16:17], v[26:27] op_sel:[0,0,1] op_sel_hi:[0,1,0]
	v_mov_b32_e32 v49, v27
	v_pk_mul_f32 v[26:27], v[102:103], v[18:19] op_sel_hi:[0,1]
	v_pk_fma_f32 v[50:51], v[96:97], v[18:19], v[26:27] op_sel:[0,0,1] op_sel_hi:[1,1,0] neg_lo:[0,0,1] neg_hi:[0,0,1]
	v_pk_fma_f32 v[26:27], v[96:97], v[18:19], v[26:27] op_sel:[0,0,1] op_sel_hi:[0,1,0]
	v_mov_b32_e32 v51, v27
	v_pk_add_f32 v[80:81], v[160:161], v[50:51] neg_lo:[0,1] neg_hi:[0,1]
	v_pk_add_f32 v[30:31], v[160:161], v[50:51]
	v_pk_mul_f32 v[26:27], v[80:81], s[14:15] op_sel:[1,0] op_sel_hi:[0,0]
	v_pk_add_f32 v[84:85], v[94:95], v[48:49] neg_lo:[0,1] neg_hi:[0,1]
	v_pk_fma_f32 v[82:83], v[30:31], s[0:1], v[26:27] op_sel_hi:[1,0,1]
	v_pk_fma_f32 v[170:171], v[30:31], s[0:1], v[26:27] op_sel_hi:[1,0,1] neg_lo:[0,0,1] neg_hi:[0,0,1]
	v_pk_add_f32 v[162:163], v[94:95], v[48:49]
	v_pk_mul_f32 v[96:97], v[84:85], s[16:17] op_sel:[1,0] op_sel_hi:[0,0]
	v_accvgpr_write_b32 a83, v83
	v_mov_b32_e32 v26, v82
	v_mov_b32_e32 v27, v171
	v_pk_fma_f32 v[82:83], v[162:163], s[12:13], v[96:97] op_sel_hi:[1,0,1]
	v_pk_fma_f32 v[174:175], v[162:163], s[12:13], v[96:97] op_sel_hi:[1,0,1] neg_lo:[0,0,1] neg_hi:[0,0,1]
	v_pk_add_f32 v[26:27], v[24:25], v[26:27]
	v_accvgpr_write_b32 a85, v83
	v_mov_b32_e32 v96, v82
	v_mov_b32_e32 v97, v175
	v_pk_add_f32 v[82:83], v[64:65], v[54:55] neg_lo:[0,1] neg_hi:[0,1]
	v_pk_add_f32 v[26:27], v[96:97], v[26:27]
	v_pk_add_f32 v[166:167], v[64:65], v[54:55]
	v_pk_mul_f32 v[96:97], v[82:83], s[20:21] op_sel:[1,0] op_sel_hi:[0,0]
	v_pk_fma_f32 v[86:87], v[166:167], s[18:19], v[96:97] op_sel_hi:[1,0,1]
	v_pk_fma_f32 v[190:191], v[166:167], s[18:19], v[96:97] op_sel_hi:[1,0,1] neg_lo:[0,0,1] neg_hi:[0,0,1]
	v_mov_b32_e32 v96, v86
	v_mov_b32_e32 v97, v191
	v_pk_add_f32 v[26:27], v[96:97], v[26:27]
	v_pk_add_f32 v[180:181], v[66:67], v[52:53]
	v_pk_mul_f32 v[96:97], v[88:89], s[30:31] op_sel:[1,0] op_sel_hi:[0,0]
	v_accvgpr_write_b32 a87, v87
	v_pk_fma_f32 v[86:87], v[180:181], s[22:23], v[96:97] op_sel_hi:[1,0,1]
	v_pk_fma_f32 v[194:195], v[180:181], s[22:23], v[96:97] op_sel_hi:[1,0,1] neg_lo:[0,0,1] neg_hi:[0,0,1]
	v_mov_b32_e32 v96, v86
	v_mov_b32_e32 v97, v195
	v_pk_add_f32 v[26:27], v[96:97], v[26:27]
	v_pk_mul_f32 v[96:97], v[90:91], s[26:27] op_sel:[1,0] op_sel_hi:[0,0]
	v_accvgpr_write_b32 a89, v87
	v_pk_fma_f32 v[86:87], v[182:183], s[24:25], v[96:97] op_sel_hi:[1,0,1]
	v_pk_fma_f32 v[198:199], v[182:183], s[24:25], v[96:97] op_sel_hi:[1,0,1] neg_lo:[0,0,1] neg_hi:[0,0,1]
	v_mov_b32_e32 v96, v86
	v_mov_b32_e32 v97, v199
	v_pk_add_f32 v[26:27], v[96:97], v[26:27]
	v_accvgpr_write_b32 a107, v81
	v_pk_mul_f32 v[96:97], v[80:81], s[40:41] op_sel:[1,0] op_sel_hi:[0,0]
	v_accvgpr_write_b32 a106, v80
	v_pk_fma_f32 v[80:81], v[30:31], s[28:29], v[96:97] op_sel_hi:[1,0,1]
	v_pk_fma_f32 v[210:211], v[30:31], s[28:29], v[96:97] op_sel_hi:[1,0,1] neg_lo:[0,0,1] neg_hi:[0,0,1]
	v_pk_mul_f32 v[98:99], v[84:85], s[14:15] op_sel:[1,0] op_sel_hi:[0,0]
	v_mov_b32_e32 v171, v81
	v_mov_b32_e32 v96, v80
	v_mov_b32_e32 v97, v211
	v_pk_fma_f32 v[80:81], v[162:163], s[0:1], v[98:99] op_sel_hi:[1,0,1]
	v_pk_fma_f32 v[216:217], v[162:163], s[0:1], v[98:99] op_sel_hi:[1,0,1] neg_lo:[0,0,1] neg_hi:[0,0,1]
	v_pk_add_f32 v[96:97], v[24:25], v[96:97]
	v_mov_b32_e32 v98, v80
	v_mov_b32_e32 v99, v217
	v_pk_add_f32 v[96:97], v[98:99], v[96:97]
	v_pk_mul_f32 v[98:99], v[82:83], s[38:39] op_sel:[1,0] op_sel_hi:[0,0]
	v_mov_b32_e32 v175, v81
	v_pk_fma_f32 v[80:81], v[166:167], s[24:25], v[98:99] op_sel_hi:[1,0,1]
	v_pk_fma_f32 v[220:221], v[166:167], s[24:25], v[98:99] op_sel_hi:[1,0,1] neg_lo:[0,0,1] neg_hi:[0,0,1]
	v_mov_b32_e32 v98, v80
	v_mov_b32_e32 v99, v221
	v_pk_add_f32 v[96:97], v[98:99], v[96:97]
	v_pk_mul_f32 v[98:99], v[88:89], s[16:17] op_sel:[1,0] op_sel_hi:[0,0]
	v_mov_b32_e32 v191, v81
	v_pk_fma_f32 v[80:81], v[180:181], s[12:13], v[98:99] op_sel_hi:[1,0,1]
	v_pk_fma_f32 v[224:225], v[180:181], s[12:13], v[98:99] op_sel_hi:[1,0,1] neg_lo:[0,0,1] neg_hi:[0,0,1]
	;; [unrolled: 7-line block ×3, first 2 shown]
	v_accvgpr_write_b32 a93, v87
	v_pk_add_f32 v[86:87], v[62:63], v[56:57] neg_lo:[0,1] neg_hi:[0,1]
	v_mov_b32_e32 v98, v80
	v_mov_b32_e32 v99, v229
	v_pk_add_f32 v[96:97], v[98:99], v[96:97]
	v_pk_mul_f32 v[98:99], v[86:87], s[20:21] op_sel:[1,0] op_sel_hi:[0,0]
	v_mov_b32_e32 v199, v81
	v_pk_fma_f32 v[80:81], v[184:185], s[18:19], v[98:99] op_sel_hi:[1,0,1]
	v_pk_fma_f32 v[232:233], v[184:185], s[18:19], v[98:99] op_sel_hi:[1,0,1] neg_lo:[0,0,1] neg_hi:[0,0,1]
	v_mov_b32_e32 v98, v80
	v_mov_b32_e32 v99, v233
	v_accvgpr_write_b32 a95, v81
	v_pk_add_f32 v[80:81], v[98:99], v[96:97]
	v_pk_mul_f32 v[96:97], v[86:87], s[36:37] op_sel:[1,0] op_sel_hi:[0,0]
	v_accvgpr_write_b32 a76, v80
	v_accvgpr_write_b32 a77, v81
	v_pk_fma_f32 v[80:81], v[184:185], s[28:29], v[96:97] op_sel_hi:[1,0,1]
	v_pk_fma_f32 v[236:237], v[184:185], s[28:29], v[96:97] op_sel_hi:[1,0,1] neg_lo:[0,0,1] neg_hi:[0,0,1]
	v_mov_b32_e32 v96, v80
	v_mov_b32_e32 v97, v237
	v_pk_add_f32 v[26:27], v[96:97], v[26:27]
	v_mov_b32_e32 v96, v3
	v_pk_mul_f32 v[96:97], v[44:45], v[96:97] op_sel_hi:[1,0]
	s_mov_b32 s29, s40
	v_pk_fma_f32 v[98:99], v[44:45], v[2:3], v[96:97] op_sel:[0,0,1] op_sel_hi:[1,1,0] neg_lo:[0,0,1] neg_hi:[0,0,1]
	v_pk_fma_f32 v[44:45], v[44:45], v[2:3], v[96:97] op_sel:[0,0,1] op_sel_hi:[1,0,0]
	s_mov_b32 s41, s28
	v_mov_b32_e32 v99, v45
	v_pk_mul_f32 v[44:45], v[46:47], v[4:5] op_sel:[0,1]
	v_pk_add_f32 v[108:109], v[108:109], v[98:99]
	v_pk_fma_f32 v[96:97], v[46:47], v[4:5], v[44:45] op_sel:[0,0,1] op_sel_hi:[1,1,0] neg_lo:[0,0,1] neg_hi:[0,0,1]
	v_pk_fma_f32 v[44:45], v[46:47], v[4:5], v[44:45] op_sel:[0,0,1] op_sel_hi:[1,0,0]
	s_mov_b32 s1, s14
	v_mov_b32_e32 v44, v7
	v_mov_b32_e32 v97, v45
	v_pk_mul_f32 v[44:45], v[40:41], v[44:45] op_sel_hi:[1,0]
	v_pk_add_f32 v[108:109], v[108:109], v[96:97]
	v_pk_fma_f32 v[46:47], v[40:41], v[6:7], v[44:45] op_sel:[0,0,1] op_sel_hi:[1,1,0] neg_lo:[0,0,1] neg_hi:[0,0,1]
	v_pk_fma_f32 v[40:41], v[40:41], v[6:7], v[44:45] op_sel:[0,0,1] op_sel_hi:[1,0,0]
	s_mov_b32 s15, s0
	v_mov_b32_e32 v47, v41
	v_pk_mul_f32 v[40:41], v[42:43], v[8:9] op_sel:[0,1]
	v_pk_add_f32 v[108:109], v[108:109], v[46:47]
	v_pk_fma_f32 v[44:45], v[42:43], v[8:9], v[40:41] op_sel:[0,0,1] op_sel_hi:[1,1,0] neg_lo:[0,0,1] neg_hi:[0,0,1]
	v_pk_fma_f32 v[40:41], v[42:43], v[8:9], v[40:41] op_sel:[0,0,1] op_sel_hi:[1,0,0]
	s_mov_b32 s25, s38
	v_mov_b32_e32 v40, v11
	v_mov_b32_e32 v45, v41
	v_pk_mul_f32 v[40:41], v[36:37], v[40:41] op_sel_hi:[1,0]
	v_pk_add_f32 v[108:109], v[108:109], v[44:45]
	v_pk_fma_f32 v[42:43], v[36:37], v[10:11], v[40:41] op_sel:[0,0,1] op_sel_hi:[1,1,0] neg_lo:[0,0,1] neg_hi:[0,0,1]
	v_pk_fma_f32 v[36:37], v[36:37], v[10:11], v[40:41] op_sel:[0,0,1] op_sel_hi:[1,0,0]
	v_pk_add_f32 v[242:243], v[46:47], v[44:45]
	v_mov_b32_e32 v43, v37
	v_pk_mul_f32 v[36:37], v[38:39], v[20:21] op_sel:[0,1]
	v_pk_add_f32 v[108:109], v[108:109], v[42:43]
	v_pk_fma_f32 v[40:41], v[38:39], v[20:21], v[36:37] op_sel:[0,0,1] op_sel_hi:[1,1,0] neg_lo:[0,0,1] neg_hi:[0,0,1]
	v_pk_fma_f32 v[36:37], v[38:39], v[20:21], v[36:37] op_sel:[0,0,1] op_sel_hi:[1,0,0]
	v_pk_add_f32 v[244:245], v[96:97], v[42:43]
	v_mov_b32_e32 v36, v23
	v_mov_b32_e32 v41, v37
	v_pk_mul_f32 v[36:37], v[32:33], v[36:37] op_sel_hi:[1,0]
	v_pk_add_f32 v[108:109], v[108:109], v[40:41]
	v_pk_fma_f32 v[38:39], v[32:33], v[22:23], v[36:37] op_sel:[0,0,1] op_sel_hi:[1,0,0] neg_lo:[0,0,1] neg_hi:[0,0,1]
	v_pk_fma_f32 v[102:103], v[32:33], v[22:23], v[36:37] op_sel:[0,0,1] op_sel_hi:[1,0,0]
	v_pk_mul_f32 v[32:33], v[34:35], v[16:17] op_sel:[0,1]
	v_mov_b32_e32 v39, v103
	v_pk_fma_f32 v[104:105], v[34:35], v[16:17], v[32:33] op_sel:[0,0,1] op_sel_hi:[1,0,0] neg_lo:[0,0,1] neg_hi:[0,0,1]
	v_pk_fma_f32 v[32:33], v[34:35], v[16:17], v[32:33] op_sel:[0,0,1] op_sel_hi:[1,0,0]
	v_pk_add_f32 v[108:109], v[108:109], v[38:39]
	v_mov_b32_e32 v32, v19
	v_pk_mul_f32 v[34:35], v[186:187], v[32:33] op_sel_hi:[1,0]
	v_mov_b32_e32 v105, v33
	v_pk_fma_f32 v[36:37], v[186:187], v[18:19], v[34:35] op_sel:[0,0,1] op_sel_hi:[1,0,0] neg_lo:[0,0,1] neg_hi:[0,0,1]
	v_pk_fma_f32 v[34:35], v[186:187], v[18:19], v[34:35] op_sel:[0,0,1] op_sel_hi:[1,0,0]
	v_pk_add_f32 v[108:109], v[108:109], v[104:105]
	v_mov_b32_e32 v37, v35
	v_add_f32_e32 v252, v77, v36
	v_sub_f32_e32 v253, v77, v36
	v_pk_add_f32 v[122:123], v[108:109], v[36:37]
	v_add_f32_e32 v37, v79, v35
	v_sub_f32_e32 v36, v79, v35
	v_pk_mul_f32 v[108:109], v[252:253], s[28:29]
	v_add_f32_e32 v250, v204, v104
	v_sub_f32_e32 v251, v204, v104
	v_add_f32_e32 v248, v202, v38
	v_sub_f32_e32 v249, v202, v38
	v_pk_fma_f32 v[38:39], v[36:37], s[40:41], v[108:109] neg_lo:[1,0,0] neg_hi:[1,0,0]
	v_pk_fma_f32 v[104:105], v[36:37], s[40:41], v[108:109]
	v_add_f32_e32 v35, v205, v33
	v_sub_f32_e32 v34, v205, v33
	v_pk_add_f32 v[246:247], v[98:99], v[40:41]
	v_pk_add_f32 v[98:99], v[98:99], v[40:41] neg_lo:[0,1] neg_hi:[0,1]
	v_mov_b32_e32 v39, v105
	v_pk_mul_f32 v[40:41], v[250:251], s[0:1]
	v_pk_add_f32 v[110:111], v[96:97], v[42:43] neg_lo:[0,1] neg_hi:[0,1]
	v_pk_add_f32 v[118:119], v[46:47], v[44:45] neg_lo:[0,1] neg_hi:[0,1]
	v_pk_add_f32 v[42:43], v[28:29], v[38:39]
	v_pk_fma_f32 v[44:45], v[34:35], s[14:15], v[40:41] neg_lo:[1,0,0] neg_hi:[1,0,0]
	v_pk_fma_f32 v[38:39], v[34:35], s[14:15], v[40:41]
	v_add_f32_e32 v33, v203, v103
	v_sub_f32_e32 v32, v203, v103
	v_mov_b32_e32 v45, v39
	s_mov_b32 s39, s24
	v_pk_mul_f32 v[46:47], v[248:249], s[24:25]
	v_pk_add_f32 v[44:45], v[44:45], v[42:43]
	v_pk_fma_f32 v[96:97], v[32:33], s[38:39], v[46:47] neg_lo:[1,0,0] neg_hi:[1,0,0]
	v_pk_fma_f32 v[42:43], v[32:33], s[38:39], v[46:47]
	s_mov_b32 s13, s16
	v_mov_b32_e32 v97, v43
	v_pk_add_f32 v[112:113], v[96:97], v[44:45]
	v_mov_b32_e32 v45, v247
	v_mov_b32_e32 v247, v98
	v_mov_b32_e32 v44, v99
	s_mov_b32 s17, s12
	v_pk_mul_f32 v[102:103], v[246:247], s[12:13]
	s_mov_b32 s23, s34
	v_pk_fma_f32 v[98:99], v[44:45], s[16:17], v[102:103] neg_lo:[1,0,0] neg_hi:[1,0,0]
	v_pk_fma_f32 v[96:97], v[44:45], s[16:17], v[102:103]
	s_mov_b32 s35, s22
	v_mov_b32_e32 v99, v97
	v_pk_add_f32 v[116:117], v[98:99], v[112:113]
	v_mov_b32_e32 v99, v245
	v_mov_b32_e32 v245, v110
	v_mov_b32_e32 v98, v111
	v_pk_mul_f32 v[112:113], v[244:245], s[22:23]
	v_accvgpr_write_b32 a119, v27
	v_pk_fma_f32 v[120:121], v[98:99], s[34:35], v[112:113] neg_lo:[1,0,0] neg_hi:[1,0,0]
	v_pk_fma_f32 v[110:111], v[98:99], s[34:35], v[112:113]
	s_mov_b32 s19, s20
	v_mov_b32_e32 v121, v111
	v_pk_add_f32 v[124:125], v[120:121], v[116:117]
	v_mov_b32_e32 v117, v243
	v_mov_b32_e32 v243, v118
	v_accvgpr_write_b32 a118, v26
	v_lshrrev_b32_e32 v26, 2, v70
	v_mov_b32_e32 v116, v119
	s_mov_b32 s21, s18
	v_pk_mul_f32 v[120:121], v[242:243], s[18:19]
	v_mul_u32_u24_e32 v26, 52, v26
	v_pk_fma_f32 v[126:127], v[116:117], s[20:21], v[120:121] neg_lo:[1,0,0] neg_hi:[1,0,0]
	v_pk_fma_f32 v[118:119], v[116:117], s[20:21], v[120:121]
	v_or_b32_e32 v26, v26, v71
	v_mov_b32_e32 v127, v119
	v_lshlrev_b32_e32 v101, 3, v26
	v_pk_add_f32 v[124:125], v[126:127], v[124:125]
	v_pk_mul_f32 v[126:127], v[252:253], s[0:1]
	ds_write2_b64 v101, v[122:123], v[124:125] offset1:4
	v_pk_fma_f32 v[122:123], v[36:37], s[14:15], v[126:127] neg_lo:[1,0,0] neg_hi:[1,0,0]
	v_pk_fma_f32 v[124:125], v[36:37], s[14:15], v[126:127]
	v_pk_mul_f32 v[128:129], v[250:251], s[12:13]
	v_mov_b32_e32 v123, v125
	v_pk_add_f32 v[130:131], v[28:29], v[122:123]
	v_pk_fma_f32 v[132:133], v[34:35], s[16:17], v[128:129] neg_lo:[1,0,0] neg_hi:[1,0,0]
	v_pk_fma_f32 v[122:123], v[34:35], s[16:17], v[128:129]
	s_mov_b32 s31, s22
	v_mov_b32_e32 v133, v123
	v_pk_add_f32 v[134:135], v[132:133], v[130:131]
	v_pk_mul_f32 v[132:133], v[248:249], s[18:19]
	s_mov_b32 s27, s24
	v_pk_fma_f32 v[136:137], v[32:33], s[20:21], v[132:133] neg_lo:[1,0,0] neg_hi:[1,0,0]
	v_pk_fma_f32 v[130:131], v[32:33], s[20:21], v[132:133]
	s_mov_b32 s29, s36
	v_mov_b32_e32 v137, v131
	v_pk_add_f32 v[138:139], v[136:137], v[134:135]
	v_pk_mul_f32 v[136:137], v[246:247], s[42:43]
	s_mov_b32 s37, s28
	v_pk_fma_f32 v[140:141], v[44:45], s[30:31], v[136:137] neg_lo:[1,0,0] neg_hi:[1,0,0]
	v_pk_fma_f32 v[134:135], v[44:45], s[30:31], v[136:137]
	v_pk_mul_f32 v[150:151], v[252:253], s[24:25]
	v_mov_b32_e32 v141, v135
	v_pk_add_f32 v[142:143], v[140:141], v[138:139]
	v_pk_mul_f32 v[140:141], v[244:245], s[48:49]
	v_pk_mul_f32 v[152:153], v[250:251], s[18:19]
	v_pk_fma_f32 v[144:145], v[98:99], s[26:27], v[140:141] neg_lo:[1,0,0] neg_hi:[1,0,0]
	v_pk_fma_f32 v[138:139], v[98:99], s[26:27], v[140:141]
	v_pk_fma_f32 v[156:157], v[34:35], s[20:21], v[152:153] neg_lo:[1,0,0] neg_hi:[1,0,0]
	v_mov_b32_e32 v145, v139
	v_pk_add_f32 v[146:147], v[144:145], v[142:143]
	v_pk_mul_f32 v[144:145], v[242:243], s[28:29]
	v_pk_mul_f32 v[186:187], v[246:247], s[28:29]
	v_pk_fma_f32 v[148:149], v[116:117], s[36:37], v[144:145] neg_lo:[1,0,0] neg_hi:[1,0,0]
	v_pk_fma_f32 v[142:143], v[116:117], s[36:37], v[144:145]
	v_pk_fma_f32 v[188:189], v[44:45], s[36:37], v[186:187] neg_lo:[1,0,0] neg_hi:[1,0,0]
	v_mov_b32_e32 v149, v143
	v_pk_add_f32 v[168:169], v[148:149], v[146:147]
	v_pk_fma_f32 v[146:147], v[36:37], s[38:39], v[150:151] neg_lo:[1,0,0] neg_hi:[1,0,0]
	v_pk_fma_f32 v[148:149], v[36:37], s[38:39], v[150:151]
	v_pk_mul_f32 v[204:205], v[244:245], s[0:1]
	v_mov_b32_e32 v147, v149
	v_pk_add_f32 v[154:155], v[28:29], v[146:147]
	v_pk_fma_f32 v[146:147], v[34:35], s[20:21], v[152:153]
	v_pk_fma_f32 v[202:203], v[98:99], s[14:15], v[204:205]
	v_mov_b32_e32 v157, v147
	v_pk_add_f32 v[158:159], v[156:157], v[154:155]
	v_pk_mul_f32 v[156:157], v[248:249], s[44:45]
	v_pk_mul_f32 v[240:241], v[242:243], s[22:23]
	v_pk_fma_f32 v[172:173], v[32:33], s[46:47], v[156:157] neg_lo:[1,0,0] neg_hi:[1,0,0]
	v_pk_fma_f32 v[154:155], v[32:33], s[46:47], v[156:157]
	v_pk_fma_f32 v[238:239], v[116:117], s[34:35], v[240:241]
	v_mov_b32_e32 v173, v155
	v_pk_add_f32 v[172:173], v[172:173], v[158:159]
	v_pk_fma_f32 v[158:159], v[44:45], s[36:37], v[186:187]
	v_pk_mul_f32 v[192:193], v[252:253], s[12:13]
	v_mov_b32_e32 v189, v159
	v_pk_add_f32 v[172:173], v[188:189], v[172:173]
	v_pk_fma_f32 v[188:189], v[98:99], s[14:15], v[204:205] neg_lo:[1,0,0] neg_hi:[1,0,0]
	v_pk_fma_f32 v[196:197], v[36:37], s[16:17], v[192:193]
	v_mov_b32_e32 v189, v203
	v_pk_add_f32 v[172:173], v[188:189], v[172:173]
	v_pk_fma_f32 v[188:189], v[116:117], s[34:35], v[240:241] neg_lo:[1,0,0] neg_hi:[1,0,0]
	v_pk_mul_f32 v[208:209], v[250:251], s[42:43]
	v_mov_b32_e32 v189, v239
	v_pk_add_f32 v[172:173], v[188:189], v[172:173]
	ds_write2_b64 v101, v[168:169], v[172:173] offset0:8 offset1:12
	v_pk_fma_f32 v[168:169], v[36:37], s[16:17], v[192:193] neg_lo:[1,0,0] neg_hi:[1,0,0]
	v_pk_fma_f32 v[172:173], v[34:35], s[30:31], v[208:209] neg_lo:[1,0,0] neg_hi:[1,0,0]
	v_mov_b32_e32 v169, v197
	v_pk_fma_f32 v[164:165], v[34:35], s[30:31], v[208:209]
	v_pk_add_f32 v[168:169], v[28:29], v[168:169]
	v_mov_b32_e32 v173, v165
	v_pk_mul_f32 v[214:215], v[248:249], s[28:29]
	v_pk_add_f32 v[172:173], v[172:173], v[168:169]
	v_pk_fma_f32 v[188:189], v[32:33], s[36:37], v[214:215] neg_lo:[1,0,0] neg_hi:[1,0,0]
	v_pk_fma_f32 v[168:169], v[32:33], s[36:37], v[214:215]
	s_mov_b32 s44, 0x3e750f2a
	v_mov_b32_e32 v189, v169
	v_pk_add_f32 v[188:189], v[188:189], v[172:173]
	v_pk_mul_f32 v[172:173], v[246:247], s[24:25]
	s_mov_b32 s51, s44
	v_pk_fma_f32 v[254:255], v[44:45], s[38:39], v[172:173] neg_lo:[1,0,0] neg_hi:[1,0,0]
	v_pk_fma_f32 v[218:219], v[44:45], s[38:39], v[172:173]
	s_mov_b32 s45, s18
	v_mov_b32_e32 v255, v219
	v_pk_mul_f32 v[222:223], v[244:245], s[50:51]
	v_pk_add_f32 v[254:255], v[254:255], v[188:189]
	v_pk_fma_f32 v[188:189], v[98:99], s[44:45], v[222:223] neg_lo:[1,0,0] neg_hi:[1,0,0]
	v_pk_fma_f32 v[226:227], v[98:99], s[44:45], v[222:223]
	s_mov_b32 s42, 0x3f52af12
	v_mov_b32_e32 v189, v227
	s_mov_b32 s53, s42
	v_pk_add_f32 v[188:189], v[188:189], v[254:255]
	s_mov_b32 s43, s0
	v_pk_mul_f32 v[254:255], v[242:243], s[52:53]
	v_pk_mul_f32 v[114:115], v[250:251], s[48:49]
	v_pk_fma_f32 v[230:231], v[116:117], s[42:43], v[254:255] neg_lo:[1,0,0] neg_hi:[1,0,0]
	v_pk_fma_f32 v[234:235], v[116:117], s[42:43], v[254:255]
	v_pk_fma_f32 v[176:177], v[34:35], s[26:27], v[114:115] neg_lo:[1,0,0] neg_hi:[1,0,0]
	v_mov_b32_e32 v231, v235
	v_pk_add_f32 v[188:189], v[230:231], v[188:189]
	v_pk_mul_f32 v[230:231], v[252:253], s[22:23]
	v_pk_fma_f32 v[178:179], v[34:35], s[26:27], v[114:115]
	v_pk_fma_f32 v[70:71], v[36:37], s[34:35], v[230:231] neg_lo:[1,0,0] neg_hi:[1,0,0]
	v_pk_fma_f32 v[76:77], v[36:37], s[34:35], v[230:231]
	v_mov_b32_e32 v177, v179
	v_mov_b32_e32 v71, v77
	v_pk_add_f32 v[70:71], v[28:29], v[70:71]
	v_accvgpr_write_b32 a117, v87
	v_pk_add_f32 v[70:71], v[176:177], v[70:71]
	v_pk_mul_f32 v[176:177], v[248:249], s[0:1]
	v_accvgpr_write_b32 a116, v86
	v_pk_fma_f32 v[78:79], v[32:33], s[14:15], v[176:177] neg_lo:[1,0,0] neg_hi:[1,0,0]
	v_pk_fma_f32 v[86:87], v[32:33], s[14:15], v[176:177]
	v_accvgpr_write_b32 a113, v89
	v_mov_b32_e32 v79, v87
	v_pk_add_f32 v[70:71], v[78:79], v[70:71]
	v_pk_mul_f32 v[78:79], v[246:247], s[50:51]
	v_accvgpr_write_b32 a112, v88
	v_pk_fma_f32 v[88:89], v[44:45], s[44:45], v[78:79] neg_lo:[1,0,0] neg_hi:[1,0,0]
	v_pk_fma_f32 v[90:91], v[44:45], s[44:45], v[78:79]
	v_accvgpr_write_b32 a111, v83
	v_mov_b32_e32 v89, v91
	;; [unrolled: 7-line block ×3, first 2 shown]
	v_pk_add_f32 v[70:71], v[92:93], v[70:71]
	v_pk_mul_f32 v[92:93], v[242:243], s[12:13]
	v_accvgpr_write_b32 a109, v85
	v_pk_fma_f32 v[80:81], v[116:117], s[16:17], v[92:93] neg_lo:[1,0,0] neg_hi:[1,0,0]
	v_pk_fma_f32 v[82:83], v[116:117], s[16:17], v[92:93]
	v_pk_mul_f32 v[250:251], v[250:251], s[28:29]
	v_mov_b32_e32 v81, v83
	v_pk_add_f32 v[70:71], v[80:81], v[70:71]
	ds_write2_b64 v101, v[188:189], v[70:71] offset0:16 offset1:20
	v_pk_mul_f32 v[70:71], v[252:253], s[18:19]
	v_accvgpr_write_b32 a108, v84
	v_pk_fma_f32 v[80:81], v[36:37], s[20:21], v[70:71] neg_lo:[1,0,0] neg_hi:[1,0,0]
	v_pk_fma_f32 v[188:189], v[36:37], s[20:21], v[70:71]
	v_pk_fma_f32 v[252:253], v[34:35], s[36:37], v[250:251] neg_lo:[1,0,0] neg_hi:[1,0,0]
	v_mov_b32_e32 v81, v189
	v_pk_fma_f32 v[84:85], v[34:35], s[36:37], v[250:251]
	v_pk_add_f32 v[80:81], v[28:29], v[80:81]
	v_mov_b32_e32 v253, v85
	v_pk_mul_f32 v[248:249], v[248:249], s[22:23]
	v_pk_fma_f32 v[70:71], v[36:37], s[20:21], v[70:71] neg_lo:[0,0,1] neg_hi:[0,0,1]
	v_pk_add_f32 v[80:81], v[252:253], v[80:81]
	v_pk_fma_f32 v[252:253], v[32:33], s[34:35], v[248:249] neg_lo:[1,0,0] neg_hi:[1,0,0]
	v_pk_fma_f32 v[106:107], v[32:33], s[34:35], v[248:249]
	v_mov_b32_e32 v189, v71
	v_mov_b32_e32 v253, v107
	v_pk_mul_f32 v[246:247], v[246:247], s[52:53]
	v_pk_add_f32 v[70:71], v[28:29], v[188:189]
	v_pk_fma_f32 v[188:189], v[34:35], s[36:37], v[250:251] neg_lo:[0,0,1] neg_hi:[0,0,1]
	v_pk_add_f32 v[80:81], v[252:253], v[80:81]
	v_pk_fma_f32 v[252:253], v[44:45], s[42:43], v[246:247] neg_lo:[1,0,0] neg_hi:[1,0,0]
	v_pk_fma_f32 v[200:201], v[44:45], s[42:43], v[246:247]
	v_mov_b32_e32 v85, v189
	v_mov_b32_e32 v253, v201
	v_pk_mul_f32 v[244:245], v[244:245], s[12:13]
	v_pk_add_f32 v[70:71], v[84:85], v[70:71]
	v_pk_fma_f32 v[84:85], v[32:33], s[34:35], v[248:249] neg_lo:[0,0,1] neg_hi:[0,0,1]
	v_pk_add_f32 v[80:81], v[252:253], v[80:81]
	v_pk_fma_f32 v[252:253], v[98:99], s[16:17], v[244:245] neg_lo:[1,0,0] neg_hi:[1,0,0]
	v_pk_fma_f32 v[206:207], v[98:99], s[16:17], v[244:245]
	v_mov_b32_e32 v107, v85
	v_pk_fma_f32 v[84:85], v[44:45], s[42:43], v[246:247] neg_lo:[0,0,1] neg_hi:[0,0,1]
	v_mov_b32_e32 v253, v207
	v_pk_mul_f32 v[242:243], v[242:243], s[48:49]
	v_pk_add_f32 v[70:71], v[106:107], v[70:71]
	v_mov_b32_e32 v201, v85
	v_pk_fma_f32 v[84:85], v[98:99], s[16:17], v[244:245] neg_lo:[0,0,1] neg_hi:[0,0,1]
	v_pk_add_f32 v[80:81], v[252:253], v[80:81]
	v_pk_fma_f32 v[252:253], v[116:117], s[26:27], v[242:243] neg_lo:[1,0,0] neg_hi:[1,0,0]
	v_pk_fma_f32 v[212:213], v[116:117], s[26:27], v[242:243]
	v_pk_add_f32 v[70:71], v[200:201], v[70:71]
	v_mov_b32_e32 v207, v85
	v_pk_fma_f32 v[84:85], v[116:117], s[26:27], v[242:243] neg_lo:[0,0,1] neg_hi:[0,0,1]
	v_mov_b32_e32 v253, v213
	v_pk_add_f32 v[70:71], v[206:207], v[70:71]
	v_mov_b32_e32 v213, v85
	v_pk_add_f32 v[80:81], v[252:253], v[80:81]
	v_pk_add_f32 v[70:71], v[212:213], v[70:71]
	ds_write2_b64 v101, v[80:81], v[70:71] offset0:24 offset1:28
	v_pk_fma_f32 v[70:71], v[36:37], s[34:35], v[230:231] neg_lo:[0,0,1] neg_hi:[0,0,1]
	v_lshrrev_b32_e32 v5, 2, v68
	v_mov_b32_e32 v77, v71
	v_pk_add_f32 v[70:71], v[28:29], v[76:77]
	v_pk_fma_f32 v[76:77], v[34:35], s[26:27], v[114:115] neg_lo:[0,0,1] neg_hi:[0,0,1]
	v_accvgpr_write_b32 a58, v21
	v_mov_b32_e32 v179, v77
	v_pk_fma_f32 v[76:77], v[32:33], s[14:15], v[176:177] neg_lo:[0,0,1] neg_hi:[0,0,1]
	v_pk_add_f32 v[70:71], v[178:179], v[70:71]
	v_mov_b32_e32 v87, v77
	v_pk_fma_f32 v[76:77], v[44:45], s[44:45], v[78:79] neg_lo:[0,0,1] neg_hi:[0,0,1]
	v_pk_add_f32 v[70:71], v[86:87], v[70:71]
	;; [unrolled: 3-line block ×3, first 2 shown]
	v_mov_b32_e32 v27, v77
	v_pk_add_f32 v[26:27], v[26:27], v[70:71]
	v_pk_fma_f32 v[70:71], v[116:117], s[16:17], v[92:93] neg_lo:[0,0,1] neg_hi:[0,0,1]
	v_pk_fma_f32 v[76:77], v[34:35], s[30:31], v[208:209] neg_lo:[0,0,1] neg_hi:[0,0,1]
	v_mov_b32_e32 v83, v71
	v_pk_fma_f32 v[70:71], v[36:37], s[16:17], v[192:193] neg_lo:[0,0,1] neg_hi:[0,0,1]
	v_mov_b32_e32 v165, v77
	v_mov_b32_e32 v197, v71
	v_pk_add_f32 v[70:71], v[28:29], v[196:197]
	v_pk_fma_f32 v[76:77], v[32:33], s[36:37], v[214:215] neg_lo:[0,0,1] neg_hi:[0,0,1]
	v_pk_add_f32 v[70:71], v[164:165], v[70:71]
	v_mov_b32_e32 v169, v77
	v_pk_fma_f32 v[76:77], v[44:45], s[38:39], v[172:173] neg_lo:[0,0,1] neg_hi:[0,0,1]
	v_pk_add_f32 v[70:71], v[168:169], v[70:71]
	v_mov_b32_e32 v219, v77
	;; [unrolled: 3-line block ×4, first 2 shown]
	v_pk_add_f32 v[26:27], v[82:83], v[26:27]
	v_pk_add_f32 v[70:71], v[234:235], v[70:71]
	ds_write2_b64 v101, v[26:27], v[70:71] offset0:32 offset1:36
	v_pk_fma_f32 v[70:71], v[34:35], s[20:21], v[152:153] neg_lo:[0,0,1] neg_hi:[0,0,1]
	v_pk_fma_f32 v[26:27], v[36:37], s[38:39], v[150:151] neg_lo:[0,0,1] neg_hi:[0,0,1]
	v_mov_b32_e32 v147, v71
	v_pk_fma_f32 v[70:71], v[32:33], s[46:47], v[156:157] neg_lo:[0,0,1] neg_hi:[0,0,1]
	v_mov_b32_e32 v149, v27
	v_mov_b32_e32 v155, v71
	v_pk_fma_f32 v[70:71], v[44:45], s[36:37], v[186:187] neg_lo:[0,0,1] neg_hi:[0,0,1]
	v_pk_fma_f32 v[76:77], v[34:35], s[16:17], v[128:129] neg_lo:[0,0,1] neg_hi:[0,0,1]
	v_mov_b32_e32 v159, v71
	v_pk_fma_f32 v[70:71], v[98:99], s[14:15], v[204:205] neg_lo:[0,0,1] neg_hi:[0,0,1]
	v_pk_add_f32 v[26:27], v[28:29], v[148:149]
	v_mov_b32_e32 v203, v71
	v_pk_fma_f32 v[70:71], v[116:117], s[34:35], v[240:241] neg_lo:[0,0,1] neg_hi:[0,0,1]
	v_mov_b32_e32 v123, v77
	v_mov_b32_e32 v239, v71
	v_pk_fma_f32 v[70:71], v[36:37], s[14:15], v[126:127] neg_lo:[0,0,1] neg_hi:[0,0,1]
	v_pk_fma_f32 v[76:77], v[32:33], s[20:21], v[132:133] neg_lo:[0,0,1] neg_hi:[0,0,1]
	v_mov_b32_e32 v125, v71
	v_pk_add_f32 v[70:71], v[28:29], v[124:125]
	v_pk_add_f32 v[26:27], v[146:147], v[26:27]
	;; [unrolled: 1-line block ×3, first 2 shown]
	v_mov_b32_e32 v131, v77
	v_pk_fma_f32 v[76:77], v[44:45], s[30:31], v[136:137] neg_lo:[0,0,1] neg_hi:[0,0,1]
	v_pk_add_f32 v[26:27], v[154:155], v[26:27]
	v_pk_add_f32 v[70:71], v[130:131], v[70:71]
	v_mov_b32_e32 v135, v77
	v_pk_fma_f32 v[76:77], v[98:99], s[26:27], v[140:141] neg_lo:[0,0,1] neg_hi:[0,0,1]
	v_pk_add_f32 v[26:27], v[158:159], v[26:27]
	v_pk_add_f32 v[70:71], v[134:135], v[70:71]
	v_mov_b32_e32 v139, v77
	v_pk_fma_f32 v[76:77], v[116:117], s[36:37], v[144:145] neg_lo:[0,0,1] neg_hi:[0,0,1]
	v_pk_add_f32 v[26:27], v[202:203], v[26:27]
	v_pk_add_f32 v[70:71], v[138:139], v[70:71]
	v_mov_b32_e32 v143, v77
	v_pk_add_f32 v[26:27], v[238:239], v[26:27]
	v_pk_add_f32 v[70:71], v[142:143], v[70:71]
	ds_write2_b64 v101, v[26:27], v[70:71] offset0:40 offset1:44
	v_pk_fma_f32 v[26:27], v[36:37], s[40:41], v[108:109] neg_lo:[0,0,1] neg_hi:[0,0,1]
	v_accvgpr_read_b32 v151, a119
	v_mov_b32_e32 v105, v27
	v_pk_add_f32 v[26:27], v[28:29], v[104:105]
	v_pk_fma_f32 v[28:29], v[34:35], s[14:15], v[40:41] neg_lo:[0,0,1] neg_hi:[0,0,1]
	v_accvgpr_read_b32 v150, a118
	v_mov_b32_e32 v39, v29
	v_pk_fma_f32 v[28:29], v[32:33], s[38:39], v[46:47] neg_lo:[0,0,1] neg_hi:[0,0,1]
	v_pk_add_f32 v[26:27], v[38:39], v[26:27]
	v_mov_b32_e32 v43, v29
	v_pk_fma_f32 v[28:29], v[44:45], s[16:17], v[102:103] neg_lo:[0,0,1] neg_hi:[0,0,1]
	v_pk_add_f32 v[26:27], v[42:43], v[26:27]
	;; [unrolled: 3-line block ×4, first 2 shown]
	v_mov_b32_e32 v119, v29
	v_pk_add_f32 v[26:27], v[118:119], v[26:27]
	v_accvgpr_write_b32 a90, v5
	ds_write_b64 v101, v[26:27] offset:384
	s_and_saveexec_b64 s[40:41], vcc
	s_cbranch_execz .LBB0_5
; %bb.4:
	v_pk_add_f32 v[40:41], v[24:25], v[160:161]
	v_mov_b32_e32 v211, v171
	v_pk_add_f32 v[40:41], v[40:41], v[94:95]
	v_pk_add_f32 v[42:43], v[24:25], v[210:211]
	;; [unrolled: 1-line block ×3, first 2 shown]
	v_mov_b32_e32 v217, v175
	v_pk_add_f32 v[40:41], v[40:41], v[66:67]
	v_pk_add_f32 v[42:43], v[216:217], v[42:43]
	;; [unrolled: 1-line block ×3, first 2 shown]
	v_mov_b32_e32 v221, v191
	v_pk_add_f32 v[40:41], v[40:41], v[62:63]
	v_accvgpr_read_b32 v5, a90
	v_pk_add_f32 v[40:41], v[40:41], v[56:57]
	v_pk_add_f32 v[42:43], v[220:221], v[42:43]
	;; [unrolled: 1-line block ×3, first 2 shown]
	v_mov_b32_e32 v225, v195
	v_pk_add_f32 v[40:41], v[40:41], v[52:53]
	v_mul_u32_u24_e32 v5, 52, v5
	v_accvgpr_read_b32 v9, a17
	v_pk_add_f32 v[40:41], v[40:41], v[54:55]
	v_pk_add_f32 v[42:43], v[224:225], v[42:43]
	v_mov_b32_e32 v229, v199
	v_or_b32_e32 v5, v5, v9
	v_pk_add_f32 v[40:41], v[40:41], v[48:49]
	v_pk_add_f32 v[42:43], v[228:229], v[42:43]
	v_accvgpr_read_b32 v233, a95
	v_accvgpr_read_b32 v26, a107
	v_accvgpr_read_b32 v27, a106
	v_lshlrev_b32_e32 v5, 3, v5
	v_pk_add_f32 v[40:41], v[40:41], v[50:51]
	v_pk_add_f32 v[42:43], v[232:233], v[42:43]
	v_accvgpr_read_b32 v28, a109
	v_accvgpr_read_b32 v29, a108
	ds_write2_b64 v5, v[40:41], v[42:43] offset1:4
	v_pk_mul_f32 v[42:43], v[26:27], s[38:39] op_sel_hi:[1,0]
	v_pk_mul_f32 v[48:49], v[28:29], s[20:21] op_sel_hi:[1,0]
	v_pk_fma_f32 v[44:45], v[30:31], s[24:25], v[42:43] op_sel_hi:[1,0,1] neg_lo:[0,0,1] neg_hi:[0,0,1]
	v_pk_fma_f32 v[42:43], v[30:31], s[24:25], v[42:43] op_sel_hi:[1,0,1]
	v_mov_b32_e32 v46, v44
	v_mov_b32_e32 v47, v43
	v_pk_fma_f32 v[50:51], v[162:163], s[18:19], v[48:49] op_sel_hi:[1,0,1] neg_lo:[0,0,1] neg_hi:[0,0,1]
	v_pk_fma_f32 v[48:49], v[162:163], s[18:19], v[48:49] op_sel_hi:[1,0,1]
	v_accvgpr_read_b32 v32, a111
	v_accvgpr_read_b32 v33, a110
	v_pk_add_f32 v[46:47], v[24:25], v[46:47]
	v_mov_b32_e32 v52, v50
	v_mov_b32_e32 v53, v49
	v_pk_add_f32 v[46:47], v[52:53], v[46:47]
	v_pk_mul_f32 v[52:53], v[32:33], s[46:47] op_sel_hi:[1,0]
	v_accvgpr_read_b32 v34, a113
	v_pk_fma_f32 v[54:55], v[166:167], s[12:13], v[52:53] op_sel_hi:[1,0,1] neg_lo:[0,0,1] neg_hi:[0,0,1]
	v_pk_fma_f32 v[52:53], v[166:167], s[12:13], v[52:53] op_sel_hi:[1,0,1]
	v_accvgpr_read_b32 v35, a112
	v_mov_b32_e32 v56, v54
	v_mov_b32_e32 v57, v53
	v_pk_add_f32 v[46:47], v[56:57], v[46:47]
	v_pk_mul_f32 v[56:57], v[34:35], s[36:37] op_sel_hi:[1,0]
	v_accvgpr_read_b32 v36, a115
	v_pk_fma_f32 v[58:59], v[180:181], s[28:29], v[56:57] op_sel_hi:[1,0,1] neg_lo:[0,0,1] neg_hi:[0,0,1]
	v_pk_fma_f32 v[56:57], v[180:181], s[28:29], v[56:57] op_sel_hi:[1,0,1]
	v_accvgpr_read_b32 v37, a114
	v_mov_b32_e32 v60, v58
	v_mov_b32_e32 v61, v57
	v_accvgpr_read_b32 v171, a83
	v_pk_add_f32 v[46:47], v[60:61], v[46:47]
	v_pk_mul_f32 v[60:61], v[36:37], s[14:15] op_sel_hi:[1,0]
	v_pk_add_f32 v[40:41], v[24:25], v[170:171]
	v_accvgpr_read_b32 v175, a85
	v_pk_fma_f32 v[62:63], v[182:183], s[0:1], v[60:61] op_sel_hi:[1,0,1] neg_lo:[0,0,1] neg_hi:[0,0,1]
	v_pk_fma_f32 v[60:61], v[182:183], s[0:1], v[60:61] op_sel_hi:[1,0,1]
	v_accvgpr_read_b32 v38, a117
	v_accvgpr_read_b32 v39, a116
	v_pk_add_f32 v[40:41], v[174:175], v[40:41]
	v_accvgpr_read_b32 v191, a87
	v_mov_b32_e32 v64, v62
	v_mov_b32_e32 v65, v61
	v_pk_add_f32 v[40:41], v[190:191], v[40:41]
	v_accvgpr_read_b32 v195, a89
	v_pk_add_f32 v[46:47], v[64:65], v[46:47]
	v_pk_mul_f32 v[64:65], v[38:39], s[34:35] op_sel_hi:[1,0]
	v_pk_add_f32 v[40:41], v[194:195], v[40:41]
	v_accvgpr_read_b32 v199, a93
	v_pk_fma_f32 v[66:67], v[184:185], s[22:23], v[64:65] op_sel_hi:[1,0,1] neg_lo:[0,0,1] neg_hi:[0,0,1]
	v_pk_fma_f32 v[64:65], v[184:185], s[22:23], v[64:65] op_sel_hi:[1,0,1]
	v_pk_add_f32 v[40:41], v[198:199], v[40:41]
	v_accvgpr_read_b32 v237, a97
	v_mov_b32_e32 v70, v66
	v_mov_b32_e32 v71, v65
	v_pk_add_f32 v[40:41], v[236:237], v[40:41]
	v_pk_add_f32 v[46:47], v[70:71], v[46:47]
	ds_write2_b64 v5, v[40:41], v[46:47] offset0:8 offset1:12
	v_pk_mul_f32 v[40:41], v[26:27], s[16:17] op_sel_hi:[1,0]
	v_pk_mul_f32 v[46:47], v[28:29], s[30:31] op_sel_hi:[1,0]
	v_pk_fma_f32 v[82:83], v[30:31], s[12:13], v[40:41] op_sel_hi:[1,0,1] neg_lo:[0,0,1] neg_hi:[0,0,1]
	v_pk_fma_f32 v[40:41], v[30:31], s[12:13], v[40:41] op_sel_hi:[1,0,1]
	v_mov_b32_e32 v84, v82
	v_mov_b32_e32 v85, v41
	v_pk_fma_f32 v[86:87], v[162:163], s[22:23], v[46:47] op_sel_hi:[1,0,1] neg_lo:[0,0,1] neg_hi:[0,0,1]
	v_pk_fma_f32 v[46:47], v[162:163], s[22:23], v[46:47] op_sel_hi:[1,0,1]
	v_pk_mul_f32 v[70:71], v[32:33], s[36:37] op_sel_hi:[1,0]
	v_pk_add_f32 v[84:85], v[24:25], v[84:85]
	v_mov_b32_e32 v88, v86
	v_mov_b32_e32 v89, v47
	v_pk_add_f32 v[84:85], v[88:89], v[84:85]
	v_pk_fma_f32 v[88:89], v[166:167], s[28:29], v[70:71] op_sel_hi:[1,0,1] neg_lo:[0,0,1] neg_hi:[0,0,1]
	v_pk_fma_f32 v[70:71], v[166:167], s[28:29], v[70:71] op_sel_hi:[1,0,1]
	v_pk_mul_f32 v[76:77], v[34:35], s[38:39] op_sel_hi:[1,0]
	v_mov_b32_e32 v90, v88
	v_mov_b32_e32 v91, v71
	v_pk_add_f32 v[84:85], v[90:91], v[84:85]
	v_pk_fma_f32 v[90:91], v[180:181], s[24:25], v[76:77] op_sel_hi:[1,0,1] neg_lo:[0,0,1] neg_hi:[0,0,1]
	v_pk_fma_f32 v[76:77], v[180:181], s[24:25], v[76:77] op_sel_hi:[1,0,1]
	v_pk_mul_f32 v[78:79], v[36:37], s[44:45] op_sel_hi:[1,0]
	;; [unrolled: 6-line block ×3, first 2 shown]
	v_mov_b32_e32 v94, v92
	v_mov_b32_e32 v95, v79
	v_pk_add_f32 v[84:85], v[94:95], v[84:85]
	v_pk_fma_f32 v[94:95], v[184:185], s[0:1], v[80:81] op_sel_hi:[1,0,1] neg_lo:[0,0,1] neg_hi:[0,0,1]
	v_pk_fma_f32 v[80:81], v[184:185], s[0:1], v[80:81] op_sel_hi:[1,0,1]
	v_mov_b32_e32 v96, v94
	v_mov_b32_e32 v97, v81
	v_pk_add_f32 v[84:85], v[96:97], v[84:85]
	v_pk_mul_f32 v[96:97], v[26:27], s[34:35] op_sel_hi:[1,0]
	v_pk_mul_f32 v[104:105], v[28:29], s[26:27] op_sel_hi:[1,0]
	v_pk_fma_f32 v[98:99], v[30:31], s[22:23], v[96:97] op_sel_hi:[1,0,1] neg_lo:[0,0,1] neg_hi:[0,0,1]
	v_pk_fma_f32 v[96:97], v[30:31], s[22:23], v[96:97] op_sel_hi:[1,0,1]
	v_mov_b32_e32 v102, v98
	v_mov_b32_e32 v103, v97
	v_pk_fma_f32 v[106:107], v[162:163], s[24:25], v[104:105] op_sel_hi:[1,0,1] neg_lo:[0,0,1] neg_hi:[0,0,1]
	v_pk_fma_f32 v[104:105], v[162:163], s[24:25], v[104:105] op_sel_hi:[1,0,1]
	v_pk_add_f32 v[102:103], v[24:25], v[102:103]
	v_mov_b32_e32 v108, v106
	v_mov_b32_e32 v109, v105
	v_pk_add_f32 v[102:103], v[108:109], v[102:103]
	v_pk_mul_f32 v[108:109], v[32:33], s[14:15] op_sel_hi:[1,0]
	v_pk_mul_f32 v[26:27], v[26:27], s[20:21] op_sel_hi:[1,0]
	v_pk_fma_f32 v[110:111], v[166:167], s[0:1], v[108:109] op_sel_hi:[1,0,1] neg_lo:[0,0,1] neg_hi:[0,0,1]
	v_pk_fma_f32 v[108:109], v[166:167], s[0:1], v[108:109] op_sel_hi:[1,0,1]
	v_mov_b32_e32 v112, v110
	v_mov_b32_e32 v113, v109
	v_pk_add_f32 v[102:103], v[112:113], v[102:103]
	v_pk_mul_f32 v[112:113], v[34:35], s[44:45] op_sel_hi:[1,0]
	v_pk_mul_f32 v[28:29], v[28:29], s[36:37] op_sel_hi:[1,0]
	v_pk_fma_f32 v[114:115], v[180:181], s[18:19], v[112:113] op_sel_hi:[1,0,1] neg_lo:[0,0,1] neg_hi:[0,0,1]
	v_pk_fma_f32 v[112:113], v[180:181], s[18:19], v[112:113] op_sel_hi:[1,0,1]
	;; [unrolled: 7-line block ×4, first 2 shown]
	v_mov_b32_e32 v124, v122
	v_mov_b32_e32 v125, v121
	v_pk_add_f32 v[102:103], v[124:125], v[102:103]
	ds_write2_b64 v5, v[84:85], v[102:103] offset0:16 offset1:20
	v_pk_fma_f32 v[84:85], v[30:31], s[18:19], v[26:27] op_sel_hi:[1,0,1] neg_lo:[0,0,1] neg_hi:[0,0,1]
	v_pk_fma_f32 v[26:27], v[30:31], s[18:19], v[26:27] op_sel_hi:[1,0,1]
	v_mov_b32_e32 v30, v84
	v_mov_b32_e32 v31, v27
	v_pk_fma_f32 v[102:103], v[162:163], s[28:29], v[28:29] op_sel_hi:[1,0,1] neg_lo:[0,0,1] neg_hi:[0,0,1]
	v_pk_fma_f32 v[28:29], v[162:163], s[28:29], v[28:29] op_sel_hi:[1,0,1]
	v_pk_add_f32 v[30:31], v[24:25], v[30:31]
	v_mov_b32_e32 v124, v102
	v_mov_b32_e32 v125, v29
	v_pk_add_f32 v[30:31], v[124:125], v[30:31]
	v_pk_fma_f32 v[124:125], v[166:167], s[22:23], v[32:33] op_sel_hi:[1,0,1] neg_lo:[0,0,1] neg_hi:[0,0,1]
	v_pk_fma_f32 v[32:33], v[166:167], s[22:23], v[32:33] op_sel_hi:[1,0,1]
	v_mov_b32_e32 v126, v124
	v_mov_b32_e32 v127, v33
	v_pk_add_f32 v[30:31], v[126:127], v[30:31]
	v_pk_fma_f32 v[126:127], v[180:181], s[0:1], v[34:35] op_sel_hi:[1,0,1] neg_lo:[0,0,1] neg_hi:[0,0,1]
	v_pk_fma_f32 v[34:35], v[180:181], s[0:1], v[34:35] op_sel_hi:[1,0,1]
	v_mov_b32_e32 v27, v85
	v_pk_mul_f32 v[36:37], v[36:37], s[16:17] op_sel_hi:[1,0]
	v_mov_b32_e32 v128, v126
	v_mov_b32_e32 v129, v35
	v_pk_add_f32 v[26:27], v[24:25], v[26:27]
	v_mov_b32_e32 v29, v103
	v_pk_add_f32 v[30:31], v[128:129], v[30:31]
	v_pk_fma_f32 v[128:129], v[182:183], s[12:13], v[36:37] op_sel_hi:[1,0,1] neg_lo:[0,0,1] neg_hi:[0,0,1]
	v_pk_fma_f32 v[36:37], v[182:183], s[12:13], v[36:37] op_sel_hi:[1,0,1]
	v_pk_add_f32 v[26:27], v[28:29], v[26:27]
	v_mov_b32_e32 v33, v125
	v_pk_mul_f32 v[38:39], v[38:39], s[26:27] op_sel_hi:[1,0]
	v_mov_b32_e32 v130, v128
	v_mov_b32_e32 v131, v37
	v_pk_add_f32 v[26:27], v[32:33], v[26:27]
	v_mov_b32_e32 v35, v127
	v_pk_add_f32 v[30:31], v[130:131], v[30:31]
	v_pk_fma_f32 v[130:131], v[184:185], s[24:25], v[38:39] op_sel_hi:[1,0,1] neg_lo:[0,0,1] neg_hi:[0,0,1]
	v_pk_fma_f32 v[38:39], v[184:185], s[24:25], v[38:39] op_sel_hi:[1,0,1]
	v_pk_add_f32 v[26:27], v[34:35], v[26:27]
	v_mov_b32_e32 v37, v129
	v_mov_b32_e32 v132, v130
	;; [unrolled: 1-line block ×3, first 2 shown]
	v_pk_add_f32 v[26:27], v[36:37], v[26:27]
	v_mov_b32_e32 v39, v131
	v_pk_add_f32 v[30:31], v[132:133], v[30:31]
	v_pk_add_f32 v[26:27], v[38:39], v[26:27]
	v_mov_b32_e32 v97, v99
	v_mov_b32_e32 v41, v83
	;; [unrolled: 1-line block ×3, first 2 shown]
	ds_write2_b64 v5, v[30:31], v[26:27] offset0:24 offset1:28
	v_pk_add_f32 v[26:27], v[24:25], v[96:97]
	v_mov_b32_e32 v105, v107
	v_pk_add_f32 v[28:29], v[24:25], v[40:41]
	v_mov_b32_e32 v47, v87
	;; [unrolled: 2-line block ×15, first 2 shown]
	v_pk_add_f32 v[26:27], v[120:121], v[26:27]
	v_pk_add_f32 v[28:29], v[80:81], v[28:29]
	;; [unrolled: 1-line block ×3, first 2 shown]
	ds_write2_b64 v5, v[26:27], v[28:29] offset0:32 offset1:36
	ds_write2_b64 v5, v[24:25], v[150:151] offset0:40 offset1:44
	ds_write_b64 v5, a[76:77] offset:384
.LBB0_5:
	s_or_b64 exec, exec, s[40:41]
	s_movk_i32 s0, 0x4ec5
	v_accvgpr_read_b32 v24, a102
	v_mul_u32_u24_sdwa v5, v24, s0 dst_sel:DWORD dst_unused:UNUSED_PAD src0_sel:WORD_0 src1_sel:DWORD
	v_lshrrev_b32_e32 v5, 20, v5
	v_mul_lo_u16_e32 v5, 52, v5
	v_accvgpr_read_b32 v214, a8
	v_sub_u16_e32 v5, v24, v5
	v_accvgpr_read_b32 v24, a104
	v_lshlrev_b32_e32 v68, 3, v214
	v_lshlrev_b32_e32 v215, 3, v5
	v_mul_u32_u24_sdwa v5, v24, s0 dst_sel:DWORD dst_unused:UNUSED_PAD src0_sel:WORD_0 src1_sel:DWORD
	s_waitcnt lgkmcnt(0)
	; wave barrier
	s_waitcnt lgkmcnt(0)
	global_load_dwordx2 v[102:103], v68, s[10:11] offset:400
	v_lshrrev_b32_e32 v5, 20, v5
	v_mul_lo_u16_e32 v5, 52, v5
	v_sub_u16_e32 v5, v24, v5
	v_lshlrev_b32_e32 v232, 3, v5
	global_load_dwordx2 v[58:59], v232, s[10:11] offset:400
	global_load_dwordx2 v[60:61], v215, s[10:11] offset:400
	v_accvgpr_read_b32 v26, a100
	v_mul_u32_u24_sdwa v9, v26, s0 dst_sel:DWORD dst_unused:UNUSED_PAD src0_sel:WORD_0 src1_sel:DWORD
	v_lshrrev_b32_e32 v9, 20, v9
	v_accvgpr_read_b32 v24, a98
	v_mul_lo_u16_e32 v9, 52, v9
	v_mul_u32_u24_sdwa v5, v24, s0 dst_sel:DWORD dst_unused:UNUSED_PAD src0_sel:WORD_0 src1_sel:DWORD
	v_sub_u16_e32 v9, v26, v9
	v_lshlrev_b32_e32 v233, 3, v9
	v_lshrrev_b32_e32 v5, 20, v5
	global_load_dwordx2 v[46:47], v233, s[10:11] offset:400
	v_mul_lo_u16_e32 v5, 52, v5
	v_sub_u16_e32 v5, v24, v5
	v_accvgpr_read_b32 v104, a92
	v_lshlrev_b32_e32 v82, 3, v5
	v_mul_u32_u24_sdwa v9, v104, s0 dst_sel:DWORD dst_unused:UNUSED_PAD src0_sel:WORD_0 src1_sel:DWORD
	global_load_dwordx2 v[48:49], v82, s[10:11] offset:400
	v_lshrrev_b32_e32 v17, 20, v9
	v_accvgpr_read_b32 v106, a94
	v_mul_lo_u16_e32 v17, 52, v17
	v_mul_u32_u24_sdwa v5, v106, s0 dst_sel:DWORD dst_unused:UNUSED_PAD src0_sel:WORD_0 src1_sel:DWORD
	v_sub_u16_e32 v17, v104, v17
	v_lshlrev_b32_e32 v83, 3, v17
	global_load_dwordx2 v[52:53], v83, s[10:11] offset:400
	v_lshrrev_b32_e32 v17, 20, v5
	v_mul_lo_u16_e32 v17, 52, v17
	v_sub_u16_e32 v17, v106, v17
	v_lshlrev_b32_e32 v84, 3, v17
	global_load_dwordx2 v[50:51], v84, s[10:11] offset:400
	v_accvgpr_read_b32 v108, a96
	v_mul_u32_u24_sdwa v21, v108, s0 dst_sel:DWORD dst_unused:UNUSED_PAD src0_sel:WORD_0 src1_sel:DWORD
	v_lshrrev_b32_e32 v24, 20, v21
	v_accvgpr_read_b32 v98, a88
	v_mul_lo_u16_e32 v24, 52, v24
	v_mul_u32_u24_sdwa v17, v98, s0 dst_sel:DWORD dst_unused:UNUSED_PAD src0_sel:WORD_0 src1_sel:DWORD
	v_sub_u16_e32 v24, v108, v24
	v_lshlrev_b32_e32 v85, 3, v24
	global_load_dwordx2 v[54:55], v85, s[10:11] offset:400
	v_lshrrev_b32_e32 v24, 20, v17
	v_mul_lo_u16_e32 v24, 52, v24
	s_movk_i32 s0, 0x4f
	v_accvgpr_read_b32 v26, a86
	v_sub_u16_e32 v24, v98, v24
	v_mul_lo_u16_sdwa v25, v26, s0 dst_sel:DWORD dst_unused:UNUSED_PAD src0_sel:BYTE_0 src1_sel:DWORD
	v_lshlrev_b32_e32 v86, 3, v24
	v_lshrrev_b16_e32 v25, 12, v25
	global_load_dwordx2 v[78:79], v86, s[10:11] offset:400
	v_mul_lo_u16_e32 v25, 52, v25
	v_mov_b32_e32 v24, 3
	v_sub_u16_e32 v25, v26, v25
	v_accvgpr_read_b32 v26, a84
	v_lshlrev_b32_sdwa v87, v24, v25 dst_sel:DWORD dst_unused:UNUSED_PAD src0_sel:DWORD src1_sel:BYTE_0
	global_load_dwordx2 v[96:97], v87, s[10:11] offset:400
	v_mul_lo_u16_sdwa v25, v26, s0 dst_sel:DWORD dst_unused:UNUSED_PAD src0_sel:BYTE_0 src1_sel:DWORD
	v_lshrrev_b16_e32 v25, 12, v25
	v_mul_lo_u16_e32 v25, 52, v25
	v_sub_u16_e32 v25, v26, v25
	v_lshlrev_b32_sdwa v88, v24, v25 dst_sel:DWORD dst_unused:UNUSED_PAD src0_sel:DWORD src1_sel:BYTE_0
	global_load_dwordx2 v[90:91], v88, s[10:11] offset:400
	v_add_u32_e32 v124, 0x1000, v100
	ds_read2_b64 v[28:31], v124 offset0:112 offset1:164
	ds_read2_b64 v[32:35], v100 offset1:52
	v_add_u32_e32 v94, 0x2000, v100
	ds_read2_b64 v[36:39], v124 offset0:8 offset1:60
	ds_read2_b64 v[40:43], v94 offset0:120 offset1:172
	v_add_u32_e32 v92, 0x800, v100
	v_add_u32_e32 v125, 0x1800, v100
	;; [unrolled: 1-line block ×4, first 2 shown]
	v_accvgpr_read_b32 v93, a61
	v_lshrrev_b32_e32 v17, 21, v17
	v_mul_lo_u16_e32 v17, 0x68, v17
	v_lshrrev_b32_e32 v21, 21, v21
	v_sub_u16_e32 v17, v98, v17
	v_mul_lo_u16_e32 v21, 0x68, v21
	v_lshrrev_b32_e32 v5, 21, v5
	v_sub_u16_e32 v21, v108, v21
	s_waitcnt vmcnt(10) lgkmcnt(3)
	v_pk_mul_f32 v[24:25], v[28:29], v[102:103] op_sel:[0,1]
	v_pk_mul_f32 v[26:27], v[30:31], v[102:103] op_sel:[0,1]
	v_pk_fma_f32 v[44:45], v[28:29], v[102:103], v[24:25] op_sel:[0,0,1] op_sel_hi:[1,1,0] neg_lo:[0,0,1] neg_hi:[0,0,1]
	v_pk_fma_f32 v[24:25], v[28:29], v[102:103], v[24:25] op_sel:[0,0,1] op_sel_hi:[1,0,0]
	v_pk_fma_f32 v[28:29], v[30:31], v[102:103], v[26:27] op_sel:[0,0,1] op_sel_hi:[1,1,0] neg_lo:[0,0,1] neg_hi:[0,0,1]
	v_pk_fma_f32 v[26:27], v[30:31], v[102:103], v[26:27] op_sel:[0,0,1] op_sel_hi:[1,0,0]
	v_mov_b32_e32 v45, v25
	v_mov_b32_e32 v29, v27
	s_waitcnt lgkmcnt(2)
	v_pk_add_f32 v[24:25], v[32:33], v[44:45] neg_lo:[0,1] neg_hi:[0,1]
	v_pk_add_f32 v[26:27], v[34:35], v[28:29] neg_lo:[0,1] neg_hi:[0,1]
	s_waitcnt vmcnt(9) lgkmcnt(0)
	v_pk_mul_f32 v[28:29], v[42:43], v[58:59] op_sel:[0,1]
	v_pk_fma_f32 v[56:57], v[32:33], 2.0, v[24:25] op_sel_hi:[1,0,1] neg_lo:[0,0,1] neg_hi:[0,0,1]
	v_pk_fma_f32 v[32:33], v[42:43], v[58:59], v[28:29] op_sel:[0,0,1] op_sel_hi:[1,1,0] neg_lo:[0,0,1] neg_hi:[0,0,1]
	v_pk_fma_f32 v[28:29], v[42:43], v[58:59], v[28:29] op_sel:[0,0,1] op_sel_hi:[1,0,0]
	s_waitcnt vmcnt(8)
	v_pk_mul_f32 v[30:31], v[40:41], v[60:61] op_sel:[0,1]
	v_accvgpr_write_b32 a111, v59
	v_mov_b32_e32 v33, v29
	v_accvgpr_write_b32 a110, v58
	v_pk_add_f32 v[58:59], v[38:39], v[32:33] neg_lo:[0,1] neg_hi:[0,1]
	v_pk_fma_f32 v[32:33], v[40:41], v[60:61], v[30:31] op_sel:[0,0,1] op_sel_hi:[1,1,0] neg_lo:[0,0,1] neg_hi:[0,0,1]
	v_pk_fma_f32 v[40:41], v[40:41], v[60:61], v[30:31] op_sel:[0,0,1] op_sel_hi:[1,0,0]
	ds_read2_b64 v[28:31], v94 offset0:16 offset1:68
	v_mov_b32_e32 v33, v41
	ds_read2_b64 v[40:43], v92 offset0:160 offset1:212
	v_accvgpr_write_b32 a109, v61
	v_accvgpr_write_b32 a108, v60
	v_pk_add_f32 v[60:61], v[36:37], v[32:33] neg_lo:[0,1] neg_hi:[0,1]
	s_waitcnt vmcnt(7) lgkmcnt(1)
	v_pk_mul_f32 v[32:33], v[30:31], v[46:47] op_sel:[0,1]
	v_accvgpr_write_b32 a107, v47
	v_pk_fma_f32 v[44:45], v[30:31], v[46:47], v[32:33] op_sel:[0,0,1] op_sel_hi:[1,1,0] neg_lo:[0,0,1] neg_hi:[0,0,1]
	v_pk_fma_f32 v[30:31], v[30:31], v[46:47], v[32:33] op_sel:[0,0,1] op_sel_hi:[1,0,0]
	v_accvgpr_write_b32 a106, v46
	v_mov_b32_e32 v45, v31
	s_waitcnt lgkmcnt(0)
	v_pk_add_f32 v[62:63], v[42:43], v[44:45] neg_lo:[0,1] neg_hi:[0,1]
	s_waitcnt vmcnt(6)
	v_pk_mul_f32 v[44:45], v[28:29], v[48:49] op_sel:[0,1]
	ds_read2_b64 v[30:33], v125 offset0:168 offset1:220
	v_pk_fma_f32 v[46:47], v[28:29], v[48:49], v[44:45] op_sel:[0,0,1] op_sel_hi:[1,1,0] neg_lo:[0,0,1] neg_hi:[0,0,1]
	v_pk_fma_f32 v[28:29], v[28:29], v[48:49], v[44:45] op_sel:[0,0,1] op_sel_hi:[1,0,0]
	v_accvgpr_write_b32 a101, v49
	v_mov_b32_e32 v47, v29
	v_pk_add_f32 v[64:65], v[40:41], v[46:47] neg_lo:[0,1] neg_hi:[0,1]
	ds_read2_b64 v[44:47], v92 offset0:56 offset1:108
	s_waitcnt vmcnt(5) lgkmcnt(1)
	v_pk_mul_f32 v[28:29], v[32:33], v[52:53] op_sel:[0,1]
	v_accvgpr_write_b32 a100, v48
	v_pk_fma_f32 v[48:49], v[32:33], v[52:53], v[28:29] op_sel:[0,0,1] op_sel_hi:[1,1,0] neg_lo:[0,0,1] neg_hi:[0,0,1]
	v_pk_fma_f32 v[28:29], v[32:33], v[52:53], v[28:29] op_sel:[0,0,1] op_sel_hi:[1,0,0]
	s_waitcnt vmcnt(4)
	v_accvgpr_write_b32 a103, v51
	v_mov_b32_e32 v49, v29
	v_pk_mul_f32 v[28:29], v[30:31], v[50:51] op_sel:[0,1]
	s_waitcnt lgkmcnt(0)
	v_pk_add_f32 v[66:67], v[46:47], v[48:49] neg_lo:[0,1] neg_hi:[0,1]
	v_pk_fma_f32 v[32:33], v[30:31], v[50:51], v[28:29] op_sel:[0,0,1] op_sel_hi:[1,1,0] neg_lo:[0,0,1] neg_hi:[0,0,1]
	v_pk_fma_f32 v[48:49], v[30:31], v[50:51], v[28:29] op_sel:[0,0,1] op_sel_hi:[1,0,0]
	ds_read2_b64 v[28:31], v125 offset0:64 offset1:116
	v_accvgpr_write_b32 a102, v50
	v_mov_b32_e32 v33, v49
	ds_read2_b64 v[48:51], v126 offset0:80 offset1:132
	v_accvgpr_write_b32 a105, v53
	v_pk_add_f32 v[70:71], v[44:45], v[32:33] neg_lo:[0,1] neg_hi:[0,1]
	s_waitcnt vmcnt(3) lgkmcnt(1)
	v_pk_mul_f32 v[32:33], v[30:31], v[54:55] op_sel:[0,1]
	v_accvgpr_write_b32 a104, v52
	v_pk_fma_f32 v[52:53], v[30:31], v[54:55], v[32:33] op_sel:[0,0,1] op_sel_hi:[1,1,0] neg_lo:[0,0,1] neg_hi:[0,0,1]
	v_pk_fma_f32 v[30:31], v[30:31], v[54:55], v[32:33] op_sel:[0,0,1] op_sel_hi:[1,0,0]
	v_accvgpr_write_b32 a99, v55
	v_mov_b32_e32 v53, v31
	s_waitcnt lgkmcnt(0)
	v_pk_add_f32 v[76:77], v[50:51], v[52:53] neg_lo:[0,1] neg_hi:[0,1]
	s_waitcnt vmcnt(2)
	v_pk_mul_f32 v[52:53], v[28:29], v[78:79] op_sel:[0,1]
	ds_read2_b64 v[30:33], v95 offset0:88 offset1:140
	v_accvgpr_write_b32 a98, v54
	v_pk_fma_f32 v[54:55], v[28:29], v[78:79], v[52:53] op_sel:[0,0,1] op_sel_hi:[1,1,0] neg_lo:[0,0,1] neg_hi:[0,0,1]
	v_pk_fma_f32 v[28:29], v[28:29], v[78:79], v[52:53] op_sel:[0,0,1] op_sel_hi:[1,0,0]
	v_accvgpr_write_b32 a97, v79
	v_mov_b32_e32 v55, v29
	v_pk_add_f32 v[28:29], v[48:49], v[54:55] neg_lo:[0,1] neg_hi:[0,1]
	ds_read2_b64 v[52:55], v100 offset0:104 offset1:156
	v_accvgpr_write_b32 a96, v78
	s_waitcnt vmcnt(1) lgkmcnt(1)
	v_pk_mul_f32 v[78:79], v[32:33], v[96:97] op_sel:[0,1]
	s_waitcnt lgkmcnt(0)
	v_pk_fma_f32 v[80:81], v[32:33], v[96:97], v[78:79] op_sel:[0,0,1] op_sel_hi:[1,1,0] neg_lo:[0,0,1] neg_hi:[0,0,1]
	v_pk_fma_f32 v[32:33], v[32:33], v[96:97], v[78:79] op_sel:[0,0,1] op_sel_hi:[1,0,0]
	s_waitcnt vmcnt(0)
	v_pk_mul_f32 v[78:79], v[30:31], v[90:91] op_sel:[0,1]
	v_mov_b32_e32 v81, v33
	v_pk_add_f32 v[32:33], v[54:55], v[80:81] neg_lo:[0,1] neg_hi:[0,1]
	v_pk_fma_f32 v[80:81], v[30:31], v[90:91], v[78:79] op_sel:[0,0,1] op_sel_hi:[1,1,0] neg_lo:[0,0,1] neg_hi:[0,0,1]
	v_pk_fma_f32 v[30:31], v[30:31], v[90:91], v[78:79] op_sel:[0,0,1] op_sel_hi:[1,0,0]
	; wave barrier
	s_nop 0
	v_mov_b32_e32 v81, v31
	v_pk_add_f32 v[30:31], v[52:53], v[80:81] neg_lo:[0,1] neg_hi:[0,1]
	ds_write2_b64 v100, v[56:57], v[24:25] offset1:52
	v_pk_fma_f32 v[24:25], v[34:35], 2.0, v[26:27] op_sel_hi:[1,0,1] neg_lo:[0,0,1] neg_hi:[0,0,1]
	v_pk_fma_f32 v[52:53], v[52:53], 2.0, v[30:31] op_sel_hi:[1,0,1] neg_lo:[0,0,1] neg_hi:[0,0,1]
	ds_write2_b64 v100, v[24:25], v[26:27] offset0:104 offset1:156
	v_add_u32_e32 v24, 0x400, v88
	v_pk_fma_f32 v[54:55], v[54:55], 2.0, v[32:33] op_sel_hi:[1,0,1] neg_lo:[0,0,1] neg_hi:[0,0,1]
	ds_write2_b64 v24, v[52:53], v[30:31] offset0:80 offset1:132
	v_add_u32_e32 v24, 0x800, v87
	ds_write2_b64 v24, v[54:55], v[32:33] offset0:56 offset1:108
	v_pk_fma_f32 v[24:25], v[48:49], 2.0, v[28:29] op_sel_hi:[1,0,1] neg_lo:[0,0,1] neg_hi:[0,0,1]
	v_add_u32_e32 v26, 0x800, v86
	ds_write2_b64 v26, v[24:25], v[28:29] offset0:160 offset1:212
	v_pk_fma_f32 v[24:25], v[50:51], 2.0, v[76:77] op_sel_hi:[1,0,1] neg_lo:[0,0,1] neg_hi:[0,0,1]
	;; [unrolled: 3-line block ×8, first 2 shown]
	v_add_u32_e32 v26, 0x2000, v232
	ds_write2_b64 v26, v[24:25], v[58:59] offset0:120 offset1:172
	v_accvgpr_read_b32 v24, a91
	v_lshlrev_b32_e32 v24, 3, v24
	s_waitcnt lgkmcnt(0)
	; wave barrier
	s_waitcnt lgkmcnt(0)
	global_load_dwordx4 v[36:39], v24, s[10:11] offset:816
	global_load_dwordx4 v[40:43], v93, s[10:11] offset:816
	v_lshlrev_b16_e32 v24, 4, v17
	v_mov_b32_e32 v25, v69
	v_mul_lo_u16_e32 v5, 0x68, v5
	v_lshrrev_b32_e32 v9, 21, v9
	v_lshl_add_u64 v[24:25], s[10:11], 0, v[24:25]
	v_lshlrev_b16_e32 v26, 4, v21
	v_mov_b32_e32 v27, v69
	v_sub_u16_e32 v5, v106, v5
	v_mul_lo_u16_e32 v9, 0x68, v9
	v_lshl_add_u64 v[26:27], s[10:11], 0, v[26:27]
	global_load_dwordx4 v[28:31], v[24:25], off offset:816
	global_load_dwordx4 v[32:35], v[26:27], off offset:816
	v_lshlrev_b16_e32 v24, 4, v5
	v_mov_b32_e32 v25, v69
	v_sub_u16_e32 v9, v104, v9
	v_lshl_add_u64 v[24:25], s[10:11], 0, v[24:25]
	v_lshlrev_b16_e32 v26, 4, v9
	v_mov_b32_e32 v27, v69
	v_lshl_add_u64 v[26:27], s[10:11], 0, v[26:27]
	global_load_dwordx4 v[44:47], v[24:25], off offset:816
	global_load_dwordx4 v[48:51], v[26:27], off offset:816
	ds_read2_b64 v[52:55], v92 offset0:160 offset1:212
	ds_read2_b64 v[56:59], v100 offset1:52
	ds_read2_b64 v[60:63], v125 offset0:64 offset1:116
	v_accvgpr_write_b32 a93, v91
	v_accvgpr_write_b32 a92, v90
	s_mov_b32 s0, 0x3f5db3d7
	v_accvgpr_write_b32 a86, v85
	v_accvgpr_write_b32 a85, v84
	;; [unrolled: 1-line block ×9, first 2 shown]
	v_lshlrev_b32_e32 v21, 3, v21
	v_lshlrev_b32_e32 v9, 3, v9
	v_lshl_add_u64 v[24:25], s[10:11], 0, v[68:69]
	s_movk_i32 s12, 0x1000
	s_add_u32 s8, s8, 0x2700
	s_addc_u32 s9, s9, 0
	v_accvgpr_read_b32 v220, a56
	v_accvgpr_read_b32 v221, a56
	;; [unrolled: 1-line block ×6, first 2 shown]
	v_accvgpr_write_b32 a115, v21
	v_accvgpr_write_b32 a91, v9
	v_mov_b32_e32 v242, v2
	v_mov_b32_e32 v243, v2
	;; [unrolled: 1-line block ×10, first 2 shown]
	v_accvgpr_read_b32 v230, a58
	v_accvgpr_read_b32 v231, a58
	s_waitcnt vmcnt(5)
	v_mov_b32_e32 v76, v39
	s_waitcnt vmcnt(4) lgkmcnt(2)
	v_pk_mul_f32 v[26:27], v[54:55], v[40:41] op_sel:[0,1]
	v_mov_b32_e32 v90, v43
	v_pk_fma_f32 v[64:65], v[54:55], v[40:41], v[26:27] op_sel:[0,0,1] op_sel_hi:[1,1,0] neg_lo:[0,0,1] neg_hi:[0,0,1]
	v_pk_fma_f32 v[26:27], v[54:55], v[40:41], v[26:27] op_sel:[0,0,1] op_sel_hi:[1,0,0]
	v_accvgpr_write_b32 a56, v37
	v_mov_b32_e32 v65, v27
	s_waitcnt lgkmcnt(0)
	v_pk_mul_f32 v[26:27], v[62:63], v[90:91] op_sel_hi:[1,0]
	v_accvgpr_write_b32 a122, v43
	v_pk_fma_f32 v[66:67], v[62:63], v[42:43], v[26:27] op_sel:[0,0,1] op_sel_hi:[1,1,0] neg_lo:[0,0,1] neg_hi:[0,0,1]
	v_pk_fma_f32 v[26:27], v[62:63], v[42:43], v[26:27] op_sel:[0,0,1] op_sel_hi:[1,0,0]
	s_waitcnt vmcnt(3)
	v_mov_b32_e32 v96, v31
	v_mov_b32_e32 v67, v27
	v_pk_add_f32 v[26:27], v[64:65], v[66:67]
	v_pk_add_f32 v[54:55], v[64:65], v[66:67] neg_lo:[0,1] neg_hi:[0,1]
	v_pk_fma_f32 v[26:27], v[26:27], 0.5, v[58:59] op_sel_hi:[1,0,1] neg_lo:[1,0,0] neg_hi:[1,0,0]
	v_pk_mul_f32 v[54:55], v[54:55], s[0:1] op_sel_hi:[1,0]
	s_waitcnt vmcnt(2)
	v_mov_b32_e32 v98, v35
	v_pk_add_f32 v[70:71], v[26:27], v[54:55] op_sel:[0,1] op_sel_hi:[1,0]
	v_pk_add_f32 v[26:27], v[26:27], v[54:55] op_sel:[0,1] op_sel_hi:[1,0] neg_lo:[0,1] neg_hi:[0,1]
	v_pk_mul_f32 v[54:55], v[52:53], v[36:37] op_sel:[0,1]
	s_waitcnt vmcnt(0)
	v_mov_b32_e32 v104, v51
	v_pk_fma_f32 v[62:63], v[52:53], v[36:37], v[54:55] op_sel:[0,0,1] op_sel_hi:[1,1,0] neg_lo:[0,0,1] neg_hi:[0,0,1]
	v_pk_fma_f32 v[52:53], v[52:53], v[36:37], v[54:55] op_sel:[0,0,1] op_sel_hi:[1,0,0]
	v_mov_b32_e32 v78, v47
	v_mov_b32_e32 v63, v53
	v_pk_mul_f32 v[52:53], v[60:61], v[76:77] op_sel_hi:[1,0]
	v_lshlrev_b32_e32 v35, 3, v17
	v_pk_fma_f32 v[54:55], v[60:61], v[38:39], v[52:53] op_sel:[0,0,1] op_sel_hi:[1,1,0] neg_lo:[0,0,1] neg_hi:[0,0,1]
	v_pk_fma_f32 v[52:53], v[60:61], v[38:39], v[52:53] op_sel:[0,0,1] op_sel_hi:[1,0,0]
	v_accvgpr_write_b32 a112, v31
	v_mov_b32_e32 v55, v53
	v_pk_add_f32 v[52:53], v[56:57], v[62:63]
	v_lshlrev_b32_e32 v17, 3, v5
	v_pk_add_f32 v[80:81], v[52:53], v[54:55]
	v_pk_add_f32 v[52:53], v[62:63], v[54:55]
	v_pk_add_f32 v[54:55], v[62:63], v[54:55] neg_lo:[0,1] neg_hi:[0,1]
	v_pk_fma_f32 v[52:53], v[52:53], 0.5, v[56:57] op_sel_hi:[1,0,1] neg_lo:[1,0,0] neg_hi:[1,0,0]
	v_pk_mul_f32 v[54:55], v[54:55], s[0:1] op_sel_hi:[1,0]
	v_pk_add_f32 v[56:57], v[58:59], v[64:65]
	v_pk_add_f32 v[82:83], v[52:53], v[54:55] op_sel:[0,1] op_sel_hi:[1,0]
	v_pk_add_f32 v[84:85], v[52:53], v[54:55] op_sel:[0,1] op_sel_hi:[1,0] neg_lo:[0,1] neg_hi:[0,1]
	ds_read2_b64 v[52:55], v124 offset0:8 offset1:60
	v_pk_add_f32 v[86:87], v[56:57], v[66:67]
	ds_read2_b64 v[56:59], v100 offset0:104 offset1:156
	ds_read2_b64 v[60:63], v125 offset0:168 offset1:220
	v_add_u32_e32 v5, 0x1000, v35
	v_accvgpr_write_b32 a117, v35
	s_waitcnt lgkmcnt(2)
	v_pk_mul_f32 v[64:65], v[54:55], v[40:41] op_sel:[0,1]
	v_accvgpr_write_b32 a114, v98
	v_pk_fma_f32 v[88:89], v[54:55], v[40:41], v[64:65] op_sel:[0,0,1] op_sel_hi:[1,1,0] neg_lo:[0,0,1] neg_hi:[0,0,1]
	v_pk_fma_f32 v[54:55], v[54:55], v[40:41], v[64:65] op_sel:[0,0,1] op_sel_hi:[1,0,0]
	v_accvgpr_write_b32 a113, v17
	v_mov_b32_e32 v89, v55
	s_waitcnt lgkmcnt(0)
	v_pk_mul_f32 v[54:55], v[62:63], v[90:91] op_sel_hi:[1,0]
	v_accvgpr_write_b32 a120, v39
	v_pk_fma_f32 v[90:91], v[62:63], v[42:43], v[54:55] op_sel:[0,0,1] op_sel_hi:[1,1,0] neg_lo:[0,0,1] neg_hi:[0,0,1]
	v_pk_fma_f32 v[54:55], v[62:63], v[42:43], v[54:55] op_sel:[0,0,1] op_sel_hi:[1,0,0]
	v_accvgpr_write_b32 a118, v51
	v_mov_b32_e32 v91, v55
	v_pk_add_f32 v[54:55], v[88:89], v[90:91]
	v_pk_add_f32 v[62:63], v[88:89], v[90:91] neg_lo:[0,1] neg_hi:[0,1]
	v_pk_fma_f32 v[54:55], v[54:55], 0.5, v[58:59] op_sel_hi:[1,0,1] neg_lo:[1,0,0] neg_hi:[1,0,0]
	v_pk_mul_f32 v[62:63], v[62:63], s[0:1] op_sel_hi:[1,0]
	v_accvgpr_write_b32 a116, v47
	v_pk_add_f32 v[112:113], v[54:55], v[62:63] op_sel:[0,1] op_sel_hi:[1,0] neg_lo:[0,1] neg_hi:[0,1]
	v_pk_add_f32 v[116:117], v[54:55], v[62:63] op_sel:[0,1] op_sel_hi:[1,0]
	v_pk_mul_f32 v[54:55], v[52:53], v[36:37] op_sel:[0,1]
	v_accvgpr_write_b32 a58, v41
	v_pk_fma_f32 v[118:119], v[52:53], v[36:37], v[54:55] op_sel:[0,0,1] op_sel_hi:[1,1,0] neg_lo:[0,0,1] neg_hi:[0,0,1]
	v_pk_fma_f32 v[52:53], v[52:53], v[36:37], v[54:55] op_sel:[0,0,1] op_sel_hi:[1,0,0]
	v_accvgpr_read_b32 v37, a59
	v_mov_b32_e32 v119, v53
	v_pk_mul_f32 v[52:53], v[60:61], v[76:77] op_sel_hi:[1,0]
	s_nop 0
	v_pk_fma_f32 v[120:121], v[60:61], v[38:39], v[52:53] op_sel:[0,0,1] op_sel_hi:[1,1,0] neg_lo:[0,0,1] neg_hi:[0,0,1]
	v_pk_fma_f32 v[52:53], v[60:61], v[38:39], v[52:53] op_sel:[0,0,1] op_sel_hi:[1,0,0]
	s_nop 0
	v_mov_b32_e32 v121, v53
	v_pk_add_f32 v[52:53], v[118:119], v[120:121]
	v_pk_add_f32 v[54:55], v[118:119], v[120:121] neg_lo:[0,1] neg_hi:[0,1]
	v_pk_fma_f32 v[52:53], v[52:53], 0.5, v[56:57] op_sel_hi:[1,0,1] neg_lo:[1,0,0] neg_hi:[1,0,0]
	v_pk_mul_f32 v[54:55], v[54:55], s[0:1] op_sel_hi:[1,0]
	v_pk_add_f32 v[56:57], v[56:57], v[118:119]
	v_pk_add_f32 v[122:123], v[52:53], v[54:55] op_sel:[0,1] op_sel_hi:[1,0] neg_lo:[0,1] neg_hi:[0,1]
	v_pk_add_f32 v[128:129], v[52:53], v[54:55] op_sel:[0,1] op_sel_hi:[1,0]
	ds_read2_b64 v[52:55], v95 offset0:88 offset1:140
	ds_read2_b64 v[60:63], v92 offset0:56 offset1:108
	;; [unrolled: 1-line block ×3, first 2 shown]
	v_pk_add_f32 v[56:57], v[56:57], v[120:121]
	s_waitcnt lgkmcnt(2)
	v_pk_mul_f32 v[76:77], v[54:55], v[48:49] op_sel:[0,1]
	s_nop 0
	v_pk_fma_f32 v[130:131], v[54:55], v[48:49], v[76:77] op_sel:[0,0,1] op_sel_hi:[1,1,0] neg_lo:[0,0,1] neg_hi:[0,0,1]
	v_pk_fma_f32 v[54:55], v[54:55], v[48:49], v[76:77] op_sel:[0,0,1] op_sel_hi:[1,0,0]
	s_nop 0
	v_mov_b32_e32 v131, v55
	s_waitcnt lgkmcnt(0)
	v_pk_mul_f32 v[54:55], v[66:67], v[104:105] op_sel_hi:[1,0]
	s_nop 0
	v_pk_fma_f32 v[132:133], v[66:67], v[50:51], v[54:55] op_sel:[0,0,1] op_sel_hi:[1,1,0] neg_lo:[0,0,1] neg_hi:[0,0,1]
	v_pk_fma_f32 v[54:55], v[66:67], v[50:51], v[54:55] op_sel:[0,0,1] op_sel_hi:[1,0,0]
	s_nop 0
	v_mov_b32_e32 v133, v55
	v_pk_add_f32 v[54:55], v[130:131], v[132:133]
	v_pk_add_f32 v[66:67], v[130:131], v[132:133] neg_lo:[0,1] neg_hi:[0,1]
	v_pk_fma_f32 v[54:55], v[54:55], 0.5, v[62:63] op_sel_hi:[1,0,1] neg_lo:[1,0,0] neg_hi:[1,0,0]
	v_pk_mul_f32 v[66:67], v[66:67], s[0:1] op_sel_hi:[1,0]
	s_nop 0
	v_pk_add_f32 v[134:135], v[54:55], v[66:67] op_sel:[0,1] op_sel_hi:[1,0] neg_lo:[0,1] neg_hi:[0,1]
	v_pk_add_f32 v[136:137], v[54:55], v[66:67] op_sel:[0,1] op_sel_hi:[1,0]
	v_pk_mul_f32 v[54:55], v[52:53], v[44:45] op_sel:[0,1]
	s_nop 0
	v_pk_fma_f32 v[138:139], v[52:53], v[44:45], v[54:55] op_sel:[0,0,1] op_sel_hi:[1,1,0] neg_lo:[0,0,1] neg_hi:[0,0,1]
	v_pk_fma_f32 v[52:53], v[52:53], v[44:45], v[54:55] op_sel:[0,0,1] op_sel_hi:[1,0,0]
	s_nop 0
	v_mov_b32_e32 v139, v53
	v_pk_mul_f32 v[52:53], v[64:65], v[78:79] op_sel_hi:[1,0]
	s_nop 0
	v_pk_fma_f32 v[140:141], v[64:65], v[46:47], v[52:53] op_sel:[0,0,1] op_sel_hi:[1,1,0] neg_lo:[0,0,1] neg_hi:[0,0,1]
	v_pk_fma_f32 v[52:53], v[64:65], v[46:47], v[52:53] op_sel:[0,0,1] op_sel_hi:[1,0,0]
	s_nop 0
	v_mov_b32_e32 v141, v53
	v_pk_add_f32 v[52:53], v[138:139], v[140:141]
	s_nop 0
	v_pk_fma_f32 v[64:65], v[52:53], 0.5, v[60:61] op_sel_hi:[1,0,1] neg_lo:[1,0,0] neg_hi:[1,0,0]
	v_pk_add_f32 v[52:53], v[138:139], v[140:141] neg_lo:[0,1] neg_hi:[0,1]
	s_nop 0
	v_pk_mul_f32 v[66:67], v[52:53], s[0:1] op_sel_hi:[1,0]
	ds_read2_b64 v[52:55], v124 offset0:112 offset1:164
	v_pk_add_f32 v[142:143], v[64:65], v[66:67] op_sel:[0,1] op_sel_hi:[1,0] neg_lo:[0,1] neg_hi:[0,1]
	v_pk_add_f32 v[144:145], v[64:65], v[66:67] op_sel:[0,1] op_sel_hi:[1,0]
	ds_read2_b64 v[64:67], v126 offset0:80 offset1:132
	ds_read2_b64 v[76:79], v94 offset0:16 offset1:68
	s_waitcnt lgkmcnt(0)
	v_pk_mul_f32 v[146:147], v[54:55], v[32:33] op_sel:[0,1]
	; wave barrier
	s_nop 0
	v_pk_fma_f32 v[148:149], v[54:55], v[32:33], v[146:147] op_sel:[0,0,1] op_sel_hi:[1,1,0] neg_lo:[0,0,1] neg_hi:[0,0,1]
	v_pk_fma_f32 v[54:55], v[54:55], v[32:33], v[146:147] op_sel:[0,0,1] op_sel_hi:[1,0,0]
	s_nop 0
	v_mov_b32_e32 v149, v55
	v_pk_mul_f32 v[54:55], v[78:79], v[98:99] op_sel_hi:[1,0]
	s_nop 0
	v_pk_fma_f32 v[146:147], v[78:79], v[34:35], v[54:55] op_sel:[0,0,1] op_sel_hi:[1,1,0] neg_lo:[0,0,1] neg_hi:[0,0,1]
	v_pk_fma_f32 v[54:55], v[78:79], v[34:35], v[54:55] op_sel:[0,0,1] op_sel_hi:[1,0,0]
	s_nop 0
	v_mov_b32_e32 v147, v55
	v_pk_add_f32 v[54:55], v[148:149], v[146:147]
	v_pk_add_f32 v[78:79], v[148:149], v[146:147] neg_lo:[0,1] neg_hi:[0,1]
	v_pk_fma_f32 v[54:55], v[54:55], 0.5, v[66:67] op_sel_hi:[1,0,1] neg_lo:[1,0,0] neg_hi:[1,0,0]
	v_pk_mul_f32 v[78:79], v[78:79], s[0:1] op_sel_hi:[1,0]
	s_nop 0
	v_pk_add_f32 v[160:161], v[54:55], v[78:79] op_sel:[0,1] op_sel_hi:[1,0] neg_lo:[0,1] neg_hi:[0,1]
	v_pk_add_f32 v[54:55], v[54:55], v[78:79] op_sel:[0,1] op_sel_hi:[1,0]
	v_pk_mul_f32 v[78:79], v[52:53], v[28:29] op_sel:[0,1]
	s_nop 0
	v_pk_fma_f32 v[162:163], v[52:53], v[28:29], v[78:79] op_sel:[0,0,1] op_sel_hi:[1,1,0] neg_lo:[0,0,1] neg_hi:[0,0,1]
	v_pk_fma_f32 v[52:53], v[52:53], v[28:29], v[78:79] op_sel:[0,0,1] op_sel_hi:[1,0,0]
	s_nop 0
	v_mov_b32_e32 v163, v53
	v_pk_mul_f32 v[52:53], v[76:77], v[96:97] op_sel_hi:[1,0]
	s_nop 0
	v_pk_fma_f32 v[78:79], v[76:77], v[30:31], v[52:53] op_sel:[0,0,1] op_sel_hi:[1,1,0] neg_lo:[0,0,1] neg_hi:[0,0,1]
	v_pk_fma_f32 v[52:53], v[76:77], v[30:31], v[52:53] op_sel:[0,0,1] op_sel_hi:[1,0,0]
	v_add_u32_e32 v31, 0xc00, v100
	v_mov_b32_e32 v79, v53
	v_pk_add_f32 v[52:53], v[162:163], v[78:79]
	v_pk_add_f32 v[76:77], v[162:163], v[78:79] neg_lo:[0,1] neg_hi:[0,1]
	v_pk_fma_f32 v[52:53], v[52:53], 0.5, v[64:65] op_sel_hi:[1,0,1] neg_lo:[1,0,0] neg_hi:[1,0,0]
	v_pk_mul_f32 v[76:77], v[76:77], s[0:1] op_sel_hi:[1,0]
	s_nop 0
	v_pk_add_f32 v[164:165], v[52:53], v[76:77] op_sel:[0,1] op_sel_hi:[1,0] neg_lo:[0,1] neg_hi:[0,1]
	v_pk_add_f32 v[52:53], v[52:53], v[76:77] op_sel:[0,1] op_sel_hi:[1,0]
	v_mov_b32_e32 v76, v82
	v_mov_b32_e32 v77, v85
	ds_write_b64 v100, v[76:77] offset:832
	v_mov_b32_e32 v85, v83
	v_mov_b32_e32 v77, v27
	;; [unrolled: 1-line block ×3, first 2 shown]
	ds_write_b64 v100, v[84:85] offset:1664
	ds_write2_b64 v100, v[80:81], v[86:87] offset1:52
	ds_write2_b64 v92, v[26:27], v[56:57] offset0:4 offset1:56
	v_pk_add_f32 v[56:57], v[58:59], v[88:89]
	v_mov_b32_e32 v26, v128
	v_mov_b32_e32 v27, v123
	v_pk_add_f32 v[56:57], v[56:57], v[90:91]
	v_mov_b32_e32 v123, v129
	ds_write2_b64 v92, v[56:57], v[26:27] offset0:108 offset1:160
	v_mov_b32_e32 v26, v116
	v_mov_b32_e32 v27, v113
	ds_write2_b64 v31, v[26:27], v[122:123] offset0:84 offset1:136
	v_pk_add_f32 v[26:27], v[64:65], v[162:163]
	v_mov_b32_e32 v76, v70
	v_mov_b32_e32 v113, v117
	v_pk_add_f32 v[26:27], v[26:27], v[78:79]
	v_mov_b32_e32 v56, v52
	v_mov_b32_e32 v57, v165
	ds_write_b64 v100, v[76:77] offset:1248
	ds_write_b64 v100, v[112:113] offset:4576
	ds_write2_b64 v5, v[26:27], v[56:57] offset0:112 offset1:216
	v_pk_add_f32 v[26:27], v[66:67], v[148:149]
	v_mov_b32_e32 v165, v53
	v_pk_add_f32 v[26:27], v[26:27], v[146:147]
	v_mov_b32_e32 v52, v54
	v_mov_b32_e32 v53, v161
	v_add_u32_e32 v5, 0x1000, v21
	ds_write2_b64 v5, v[26:27], v[52:53] offset0:112 offset1:216
	v_pk_add_f32 v[26:27], v[60:61], v[138:139]
	v_mov_b32_e32 v52, v144
	v_pk_add_f32 v[26:27], v[26:27], v[140:141]
	v_mov_b32_e32 v53, v143
	v_add_u32_e32 v5, 0x1c00, v17
	ds_write2_b64 v5, v[26:27], v[52:53] offset0:40 offset1:144
	v_pk_add_f32 v[26:27], v[62:63], v[130:131]
	v_mov_b32_e32 v52, v136
	v_pk_add_f32 v[26:27], v[26:27], v[132:133]
	v_mov_b32_e32 v53, v135
	v_add_u32_e32 v5, 0x1c00, v9
	ds_write2_b64 v5, v[26:27], v[52:53] offset0:40 offset1:144
	v_add_co_u32_e64 v26, s[0:1], s12, v24
	v_mov_b32_e32 v161, v55
	v_mov_b32_e32 v143, v145
	;; [unrolled: 1-line block ×3, first 2 shown]
	v_addc_co_u32_e64 v27, s[0:1], 0, v25, s[0:1]
	ds_write_b64 v35, v[164:165] offset:6656
	ds_write_b64 v21, v[160:161] offset:6656
	;; [unrolled: 1-line block ×4, first 2 shown]
	s_waitcnt lgkmcnt(0)
	; wave barrier
	s_waitcnt lgkmcnt(0)
	global_load_dwordx2 v[204:205], v[26:27], off offset:464
	global_load_dwordx2 v[194:195], v68, s[10:11] offset:2480
	global_load_dwordx2 v[196:197], v68, s[10:11] offset:2896
	global_load_dwordx2 v[202:203], v[26:27], off offset:48
	global_load_dwordx2 v[198:199], v68, s[10:11] offset:3312
	global_load_dwordx2 v[200:201], v68, s[10:11] offset:3728
	ds_read2_b64 v[52:55], v125 offset0:64 offset1:116
	ds_read2_b64 v[56:59], v126 offset0:80 offset1:132
	v_add_u32_e32 v35, 0x1c00, v100
	s_movk_i32 s10, 0x2000
	v_add_co_u32_e64 v24, s[0:1], s10, v24
	v_accvgpr_read_b32 v5, a82
	s_nop 0
	v_addc_co_u32_e64 v25, s[0:1], 0, v25, s[0:1]
	v_mov_b32_e32 v9, v8
	v_mov_b32_e32 v160, v11
	;; [unrolled: 1-line block ×4, first 2 shown]
	s_waitcnt vmcnt(5) lgkmcnt(1)
	v_pk_mul_f32 v[60:61], v[54:55], v[204:205] op_sel:[0,1]
	s_nop 0
	v_pk_fma_f32 v[62:63], v[54:55], v[204:205], v[60:61] op_sel:[0,0,1] op_sel_hi:[1,1,0] neg_lo:[0,0,1] neg_hi:[0,0,1]
	v_pk_fma_f32 v[54:55], v[54:55], v[204:205], v[60:61] op_sel:[0,0,1] op_sel_hi:[1,0,0]
	s_nop 0
	v_mov_b32_e32 v63, v55
	s_waitcnt lgkmcnt(0)
	v_pk_add_f32 v[70:71], v[58:59], v[62:63] neg_lo:[0,1] neg_hi:[0,1]
	ds_read2_b64 v[60:63], v124 offset0:112 offset1:164
	s_waitcnt vmcnt(2)
	v_pk_mul_f32 v[54:55], v[52:53], v[202:203] op_sel:[0,1]
	v_pk_fma_f32 v[118:119], v[58:59], 2.0, v[70:71] op_sel_hi:[1,0,1] neg_lo:[0,0,1] neg_hi:[0,0,1]
	v_pk_fma_f32 v[64:65], v[52:53], v[202:203], v[54:55] op_sel:[0,0,1] op_sel_hi:[1,1,0] neg_lo:[0,0,1] neg_hi:[0,0,1]
	v_pk_fma_f32 v[52:53], v[52:53], v[202:203], v[54:55] op_sel:[0,0,1] op_sel_hi:[1,0,0]
	s_nop 0
	v_mov_b32_e32 v65, v53
	ds_read2_b64 v[52:55], v100 offset1:52
	v_pk_add_f32 v[76:77], v[56:57], v[64:65] neg_lo:[0,1] neg_hi:[0,1]
	s_waitcnt lgkmcnt(1)
	v_pk_mul_f32 v[64:65], v[60:61], v[194:195] op_sel:[0,1]
	v_pk_fma_f32 v[116:117], v[56:57], 2.0, v[76:77] op_sel_hi:[1,0,1] neg_lo:[0,0,1] neg_hi:[0,0,1]
	v_pk_fma_f32 v[66:67], v[60:61], v[194:195], v[64:65] op_sel:[0,0,1] op_sel_hi:[1,1,0] neg_lo:[0,0,1] neg_hi:[0,0,1]
	v_pk_fma_f32 v[60:61], v[60:61], v[194:195], v[64:65] op_sel:[0,0,1] op_sel_hi:[1,0,0]
	s_nop 0
	v_mov_b32_e32 v67, v61
	s_waitcnt lgkmcnt(0)
	v_pk_add_f32 v[78:79], v[52:53], v[66:67] neg_lo:[0,1] neg_hi:[0,1]
	s_nop 0
	v_pk_fma_f32 v[80:81], v[52:53], 2.0, v[78:79] op_sel_hi:[1,0,1] neg_lo:[0,0,1] neg_hi:[0,0,1]
	v_pk_mul_f32 v[52:53], v[62:63], v[196:197] op_sel:[0,1]
	s_nop 0
	v_pk_fma_f32 v[64:65], v[62:63], v[196:197], v[52:53] op_sel:[0,0,1] op_sel_hi:[1,1,0] neg_lo:[0,0,1] neg_hi:[0,0,1]
	v_pk_fma_f32 v[52:53], v[62:63], v[196:197], v[52:53] op_sel:[0,0,1] op_sel_hi:[1,0,0]
	ds_read2_b64 v[60:63], v95 offset0:88 offset1:140
	v_mov_b32_e32 v65, v53
	v_pk_add_f32 v[82:83], v[54:55], v[64:65] neg_lo:[0,1] neg_hi:[0,1]
	s_waitcnt vmcnt(1) lgkmcnt(0)
	v_pk_mul_f32 v[64:65], v[60:61], v[198:199] op_sel:[0,1]
	v_pk_fma_f32 v[84:85], v[54:55], 2.0, v[82:83] op_sel_hi:[1,0,1] neg_lo:[0,0,1] neg_hi:[0,0,1]
	ds_read2_b64 v[52:55], v100 offset0:104 offset1:156
	v_pk_fma_f32 v[66:67], v[60:61], v[198:199], v[64:65] op_sel:[0,0,1] op_sel_hi:[1,1,0] neg_lo:[0,0,1] neg_hi:[0,0,1]
	v_pk_fma_f32 v[60:61], v[60:61], v[198:199], v[64:65] op_sel:[0,0,1] op_sel_hi:[1,0,0]
	s_nop 0
	v_mov_b32_e32 v67, v61
	s_waitcnt lgkmcnt(0)
	v_pk_add_f32 v[86:87], v[52:53], v[66:67] neg_lo:[0,1] neg_hi:[0,1]
	s_nop 0
	v_pk_fma_f32 v[88:89], v[52:53], 2.0, v[86:87] op_sel_hi:[1,0,1] neg_lo:[0,0,1] neg_hi:[0,0,1]
	s_waitcnt vmcnt(0)
	v_pk_mul_f32 v[52:53], v[62:63], v[200:201] op_sel:[0,1]
	s_nop 0
	v_pk_fma_f32 v[60:61], v[62:63], v[200:201], v[52:53] op_sel:[0,0,1] op_sel_hi:[1,1,0] neg_lo:[0,0,1] neg_hi:[0,0,1]
	v_pk_fma_f32 v[52:53], v[62:63], v[200:201], v[52:53] op_sel:[0,0,1] op_sel_hi:[1,0,0]
	s_nop 0
	v_mov_b32_e32 v61, v53
	v_pk_add_f32 v[90:91], v[54:55], v[60:61] neg_lo:[0,1] neg_hi:[0,1]
	ds_read2_b64 v[60:63], v94 offset0:120 offset1:172
	v_pk_fma_f32 v[112:113], v[54:55], 2.0, v[90:91] op_sel_hi:[1,0,1] neg_lo:[0,0,1] neg_hi:[0,0,1]
	ds_read2_b64 v[52:55], v124 offset0:8 offset1:60
	s_waitcnt lgkmcnt(1)
	v_pk_mul_f32 v[56:57], v[62:63], v[204:205] op_sel:[0,1]
	s_nop 0
	v_pk_fma_f32 v[58:59], v[62:63], v[204:205], v[56:57] op_sel:[0,0,1] op_sel_hi:[1,1,0] neg_lo:[0,0,1] neg_hi:[0,0,1]
	v_pk_fma_f32 v[56:57], v[62:63], v[204:205], v[56:57] op_sel:[0,0,1] op_sel_hi:[1,0,0]
	v_pk_mul_f32 v[62:63], v[60:61], v[202:203] op_sel:[0,1]
	v_mov_b32_e32 v59, v57
	s_waitcnt lgkmcnt(0)
	v_pk_add_f32 v[120:121], v[54:55], v[58:59] neg_lo:[0,1] neg_hi:[0,1]
	ds_read2_b64 v[56:59], v94 offset0:16 offset1:68
	v_pk_fma_f32 v[64:65], v[60:61], v[202:203], v[62:63] op_sel:[0,0,1] op_sel_hi:[1,1,0] neg_lo:[0,0,1] neg_hi:[0,0,1]
	v_pk_fma_f32 v[60:61], v[60:61], v[202:203], v[62:63] op_sel:[0,0,1] op_sel_hi:[1,0,0]
	s_nop 0
	v_mov_b32_e32 v65, v61
	ds_read2_b64 v[60:63], v92 offset0:160 offset1:212
	v_pk_add_f32 v[122:123], v[52:53], v[64:65] neg_lo:[0,1] neg_hi:[0,1]
	s_waitcnt lgkmcnt(1)
	v_pk_mul_f32 v[64:65], v[58:59], v[200:201] op_sel:[0,1]
	v_pk_fma_f32 v[52:53], v[52:53], 2.0, v[122:123] op_sel_hi:[1,0,1] neg_lo:[0,0,1] neg_hi:[0,0,1]
	v_pk_fma_f32 v[66:67], v[58:59], v[200:201], v[64:65] op_sel:[0,0,1] op_sel_hi:[1,1,0] neg_lo:[0,0,1] neg_hi:[0,0,1]
	v_pk_fma_f32 v[58:59], v[58:59], v[200:201], v[64:65] op_sel:[0,0,1] op_sel_hi:[1,0,0]
	s_nop 0
	v_mov_b32_e32 v67, v59
	s_waitcnt lgkmcnt(0)
	v_pk_add_f32 v[128:129], v[62:63], v[66:67] neg_lo:[0,1] neg_hi:[0,1]
	ds_read2_b64 v[64:67], v125 offset0:168 offset1:220
	v_pk_mul_f32 v[58:59], v[56:57], v[198:199] op_sel:[0,1]
	s_waitcnt lgkmcnt(0)
	v_pk_mul_f32 v[132:133], v[66:67], v[196:197] op_sel:[0,1]
	v_pk_fma_f32 v[130:131], v[56:57], v[198:199], v[58:59] op_sel:[0,0,1] op_sel_hi:[1,1,0] neg_lo:[0,0,1] neg_hi:[0,0,1]
	v_pk_fma_f32 v[56:57], v[56:57], v[198:199], v[58:59] op_sel:[0,0,1] op_sel_hi:[1,0,0]
	v_pk_fma_f32 v[134:135], v[66:67], v[196:197], v[132:133] op_sel:[0,0,1] op_sel_hi:[1,1,0] neg_lo:[0,0,1] neg_hi:[0,0,1]
	v_mov_b32_e32 v131, v57
	ds_read2_b64 v[56:59], v92 offset0:56 offset1:108
	v_pk_fma_f32 v[66:67], v[66:67], v[196:197], v[132:133] op_sel:[0,0,1] op_sel_hi:[1,0,0]
	v_pk_mul_f32 v[132:133], v[64:65], v[194:195] op_sel:[0,1]
	v_mov_b32_e32 v135, v67
	v_pk_add_f32 v[130:131], v[60:61], v[130:131] neg_lo:[0,1] neg_hi:[0,1]
	s_waitcnt lgkmcnt(0)
	v_pk_add_f32 v[66:67], v[58:59], v[134:135] neg_lo:[0,1] neg_hi:[0,1]
	v_pk_fma_f32 v[134:135], v[64:65], v[194:195], v[132:133] op_sel:[0,0,1] op_sel_hi:[1,1,0] neg_lo:[0,0,1] neg_hi:[0,0,1]
	v_pk_fma_f32 v[64:65], v[64:65], v[194:195], v[132:133] op_sel:[0,0,1] op_sel_hi:[1,0,0]
	s_nop 0
	v_mov_b32_e32 v135, v65
	v_pk_add_f32 v[64:65], v[56:57], v[134:135] neg_lo:[0,1] neg_hi:[0,1]
	; wave barrier
	s_nop 0
	v_pk_fma_f32 v[56:57], v[56:57], 2.0, v[64:65] op_sel_hi:[1,0,1] neg_lo:[0,0,1] neg_hi:[0,0,1]
	ds_write_b64 v100, v[78:79] offset:2496
	ds_write2_b64 v100, v[80:81], v[84:85] offset1:52
	ds_write2_b64 v92, v[82:83], v[86:87] offset0:108 offset1:160
	ds_write2_b64 v100, v[88:89], v[112:113] offset0:104 offset1:156
	;; [unrolled: 1-line block ×5, first 2 shown]
	v_pk_fma_f32 v[56:57], v[58:59], 2.0, v[66:67] op_sel_hi:[1,0,1] neg_lo:[0,0,1] neg_hi:[0,0,1]
	v_pk_fma_f32 v[58:59], v[60:61], 2.0, v[130:131] op_sel_hi:[1,0,1] neg_lo:[0,0,1] neg_hi:[0,0,1]
	ds_write2_b64 v124, v[56:57], v[58:59] offset0:164 offset1:216
	v_pk_fma_f32 v[56:57], v[62:63], 2.0, v[128:129] op_sel_hi:[1,0,1] neg_lo:[0,0,1] neg_hi:[0,0,1]
	ds_write2_b64 v35, v[66:67], v[130:131] offset0:92 offset1:144
	ds_write2_b64 v125, v[56:57], v[52:53] offset0:12 offset1:64
	;; [unrolled: 1-line block ×3, first 2 shown]
	v_pk_fma_f32 v[52:53], v[54:55], 2.0, v[120:121] op_sel_hi:[1,0,1] neg_lo:[0,0,1] neg_hi:[0,0,1]
	ds_write2_b64 v125, v[52:53], v[64:65] offset0:116 offset1:168
	ds_write_b64 v100, v[120:121] offset:9568
	s_waitcnt lgkmcnt(0)
	; wave barrier
	s_waitcnt lgkmcnt(0)
	global_load_dwordx2 v[228:229], v[26:27], off offset:880
	global_load_dwordx2 v[226:227], v[26:27], off offset:1296
	;; [unrolled: 1-line block ×12, first 2 shown]
	ds_read2_b64 v[52:55], v124 offset0:112 offset1:164
	ds_read2_b64 v[56:59], v100 offset1:52
	s_waitcnt vmcnt(11) lgkmcnt(1)
	v_pk_mul_f32 v[24:25], v[52:53], v[228:229] op_sel:[0,1]
	s_nop 0
	v_pk_fma_f32 v[26:27], v[52:53], v[228:229], v[24:25] op_sel:[0,0,1] op_sel_hi:[1,1,0] neg_lo:[0,0,1] neg_hi:[0,0,1]
	v_pk_fma_f32 v[24:25], v[52:53], v[228:229], v[24:25] op_sel:[0,0,1] op_sel_hi:[1,0,0]
	s_waitcnt vmcnt(10)
	v_pk_mul_f32 v[52:53], v[54:55], v[226:227] op_sel:[0,1]
	v_mov_b32_e32 v27, v25
	s_waitcnt lgkmcnt(0)
	v_pk_add_f32 v[24:25], v[56:57], v[26:27] neg_lo:[0,1] neg_hi:[0,1]
	v_pk_fma_f32 v[60:61], v[54:55], v[226:227], v[52:53] op_sel:[0,0,1] op_sel_hi:[1,0,0]
	v_pk_fma_f32 v[26:27], v[56:57], 2.0, v[24:25] op_sel_hi:[1,0,1] neg_lo:[0,0,1] neg_hi:[0,0,1]
	v_pk_fma_f32 v[56:57], v[54:55], v[226:227], v[52:53] op_sel:[0,0,1] op_sel_hi:[1,1,0] neg_lo:[0,0,1] neg_hi:[0,0,1]
	ds_read2_b64 v[52:55], v95 offset0:88 offset1:140
	v_mov_b32_e32 v57, v61
	v_pk_add_f32 v[60:61], v[58:59], v[56:57] neg_lo:[0,1] neg_hi:[0,1]
	s_waitcnt vmcnt(6)
	v_accvgpr_write_b32 a137, v83
	v_pk_fma_f32 v[62:63], v[58:59], 2.0, v[60:61] op_sel_hi:[1,0,1] neg_lo:[0,0,1] neg_hi:[0,0,1]
	ds_read2_b64 v[56:59], v100 offset0:104 offset1:156
	s_waitcnt lgkmcnt(1)
	v_pk_mul_f32 v[64:65], v[52:53], v[224:225] op_sel:[0,1]
	v_accvgpr_write_b32 a136, v82
	v_pk_fma_f32 v[66:67], v[52:53], v[224:225], v[64:65] op_sel:[0,0,1] op_sel_hi:[1,1,0] neg_lo:[0,0,1] neg_hi:[0,0,1]
	v_pk_fma_f32 v[52:53], v[52:53], v[224:225], v[64:65] op_sel:[0,0,1] op_sel_hi:[1,0,0]
	v_accvgpr_write_b32 a139, v85
	v_mov_b32_e32 v67, v53
	s_waitcnt lgkmcnt(0)
	v_pk_add_f32 v[64:65], v[56:57], v[66:67] neg_lo:[0,1] neg_hi:[0,1]
	v_pk_mul_f32 v[52:53], v[54:55], v[222:223] op_sel:[0,1]
	v_pk_fma_f32 v[66:67], v[56:57], 2.0, v[64:65] op_sel_hi:[1,0,1] neg_lo:[0,0,1] neg_hi:[0,0,1]
	v_pk_fma_f32 v[56:57], v[54:55], v[222:223], v[52:53] op_sel:[0,0,1] op_sel_hi:[1,1,0] neg_lo:[0,0,1] neg_hi:[0,0,1]
	v_pk_fma_f32 v[70:71], v[54:55], v[222:223], v[52:53] op_sel:[0,0,1] op_sel_hi:[1,0,0]
	ds_read2_b64 v[52:55], v125 offset0:64 offset1:116
	v_mov_b32_e32 v57, v71
	v_pk_add_f32 v[70:71], v[58:59], v[56:57] neg_lo:[0,1] neg_hi:[0,1]
	v_accvgpr_write_b32 a138, v84
	v_pk_fma_f32 v[76:77], v[58:59], 2.0, v[70:71] op_sel_hi:[1,0,1] neg_lo:[0,0,1] neg_hi:[0,0,1]
	ds_read2_b64 v[56:59], v126 offset0:80 offset1:132
	s_waitcnt lgkmcnt(1)
	v_pk_mul_f32 v[78:79], v[52:53], v[84:85] op_sel:[0,1]
	s_waitcnt vmcnt(4)
	v_accvgpr_write_b32 a133, v91
	v_pk_fma_f32 v[80:81], v[52:53], v[84:85], v[78:79] op_sel:[0,0,1] op_sel_hi:[1,1,0] neg_lo:[0,0,1] neg_hi:[0,0,1]
	v_pk_fma_f32 v[52:53], v[52:53], v[84:85], v[78:79] op_sel:[0,0,1] op_sel_hi:[1,0,0]
	v_accvgpr_write_b32 a132, v90
	v_mov_b32_e32 v81, v53
	s_waitcnt lgkmcnt(0)
	v_pk_add_f32 v[78:79], v[56:57], v[80:81] neg_lo:[0,1] neg_hi:[0,1]
	v_pk_mul_f32 v[52:53], v[54:55], v[82:83] op_sel:[0,1]
	v_pk_fma_f32 v[80:81], v[56:57], 2.0, v[78:79] op_sel_hi:[1,0,1] neg_lo:[0,0,1] neg_hi:[0,0,1]
	v_pk_fma_f32 v[56:57], v[54:55], v[82:83], v[52:53] op_sel:[0,0,1] op_sel_hi:[1,1,0] neg_lo:[0,0,1] neg_hi:[0,0,1]
	v_pk_fma_f32 v[82:83], v[54:55], v[82:83], v[52:53] op_sel:[0,0,1] op_sel_hi:[1,0,0]
	ds_read2_b64 v[52:55], v125 offset0:168 offset1:220
	v_mov_b32_e32 v57, v83
	v_pk_add_f32 v[82:83], v[58:59], v[56:57] neg_lo:[0,1] neg_hi:[0,1]
	v_accvgpr_write_b32 a135, v109
	v_pk_fma_f32 v[84:85], v[58:59], 2.0, v[82:83] op_sel_hi:[1,0,1] neg_lo:[0,0,1] neg_hi:[0,0,1]
	ds_read2_b64 v[56:59], v92 offset0:56 offset1:108
	s_waitcnt lgkmcnt(1)
	v_pk_mul_f32 v[86:87], v[52:53], v[108:109] op_sel:[0,1]
	s_waitcnt vmcnt(3)
	v_accvgpr_write_b32 a131, v107
	v_pk_fma_f32 v[88:89], v[52:53], v[108:109], v[86:87] op_sel:[0,0,1] op_sel_hi:[1,1,0] neg_lo:[0,0,1] neg_hi:[0,0,1]
	v_pk_fma_f32 v[52:53], v[52:53], v[108:109], v[86:87] op_sel:[0,0,1] op_sel_hi:[1,0,0]
	s_waitcnt vmcnt(2)
	v_accvgpr_write_b32 a129, v105
	v_mov_b32_e32 v89, v53
	s_waitcnt lgkmcnt(0)
	v_pk_add_f32 v[86:87], v[56:57], v[88:89] neg_lo:[0,1] neg_hi:[0,1]
	v_pk_mul_f32 v[52:53], v[54:55], v[90:91] op_sel:[0,1]
	v_pk_fma_f32 v[88:89], v[56:57], 2.0, v[86:87] op_sel_hi:[1,0,1] neg_lo:[0,0,1] neg_hi:[0,0,1]
	v_pk_fma_f32 v[56:57], v[54:55], v[90:91], v[52:53] op_sel:[0,0,1] op_sel_hi:[1,1,0] neg_lo:[0,0,1] neg_hi:[0,0,1]
	v_pk_fma_f32 v[90:91], v[54:55], v[90:91], v[52:53] op_sel:[0,0,1] op_sel_hi:[1,0,0]
	ds_read2_b64 v[52:55], v94 offset0:16 offset1:68
	v_mov_b32_e32 v57, v91
	v_pk_add_f32 v[90:91], v[58:59], v[56:57] neg_lo:[0,1] neg_hi:[0,1]
	s_waitcnt vmcnt(1)
	v_accvgpr_write_b32 a125, v97
	v_pk_fma_f32 v[112:113], v[58:59], 2.0, v[90:91] op_sel_hi:[1,0,1] neg_lo:[0,0,1] neg_hi:[0,0,1]
	ds_read2_b64 v[56:59], v92 offset0:160 offset1:212
	s_waitcnt lgkmcnt(1)
	v_pk_mul_f32 v[116:117], v[52:53], v[106:107] op_sel:[0,1]
	ds_write2_b64 v100, v[26:27], v[62:63] offset1:52
	v_pk_fma_f32 v[118:119], v[52:53], v[106:107], v[116:117] op_sel:[0,0,1] op_sel_hi:[1,1,0] neg_lo:[0,0,1] neg_hi:[0,0,1]
	v_pk_fma_f32 v[52:53], v[52:53], v[106:107], v[116:117] op_sel:[0,0,1] op_sel_hi:[1,0,0]
	s_waitcnt vmcnt(0)
	v_accvgpr_write_b32 a127, v99
	v_mov_b32_e32 v119, v53
	s_waitcnt lgkmcnt(1)
	v_pk_add_f32 v[116:117], v[56:57], v[118:119] neg_lo:[0,1] neg_hi:[0,1]
	v_pk_mul_f32 v[52:53], v[54:55], v[104:105] op_sel:[0,1]
	v_pk_fma_f32 v[118:119], v[56:57], 2.0, v[116:117] op_sel_hi:[1,0,1] neg_lo:[0,0,1] neg_hi:[0,0,1]
	v_pk_fma_f32 v[56:57], v[54:55], v[104:105], v[52:53] op_sel:[0,0,1] op_sel_hi:[1,1,0] neg_lo:[0,0,1] neg_hi:[0,0,1]
	v_pk_fma_f32 v[52:53], v[54:55], v[104:105], v[52:53] op_sel:[0,0,1] op_sel_hi:[1,0,0]
	v_accvgpr_write_b32 a134, v108
	v_mov_b32_e32 v57, v53
	ds_read2_b64 v[52:55], v94 offset0:120 offset1:172
	v_pk_add_f32 v[120:121], v[58:59], v[56:57] neg_lo:[0,1] neg_hi:[0,1]
	ds_write2_b64 v100, v[66:67], v[76:77] offset0:104 offset1:156
	ds_write2_b64 v126, v[80:81], v[84:85] offset0:80 offset1:132
	;; [unrolled: 1-line block ×3, first 2 shown]
	v_pk_fma_f32 v[122:123], v[58:59], 2.0, v[120:121] op_sel_hi:[1,0,1] neg_lo:[0,0,1] neg_hi:[0,0,1]
	ds_read2_b64 v[56:59], v124 offset0:8 offset1:60
	s_waitcnt lgkmcnt(4)
	v_pk_mul_f32 v[26:27], v[52:53], v[96:97] op_sel:[0,1]
	v_lshl_add_u64 v[84:85], s[8:9], 0, v[68:69]
	v_pk_fma_f32 v[62:63], v[52:53], v[96:97], v[26:27] op_sel:[0,0,1] op_sel_hi:[1,1,0] neg_lo:[0,0,1] neg_hi:[0,0,1]
	v_pk_fma_f32 v[26:27], v[52:53], v[96:97], v[26:27] op_sel:[0,0,1] op_sel_hi:[1,0,0]
	v_accvgpr_write_b32 a130, v106
	v_mov_b32_e32 v63, v27
	s_waitcnt lgkmcnt(0)
	v_pk_add_f32 v[26:27], v[56:57], v[62:63] neg_lo:[0,1] neg_hi:[0,1]
	v_accvgpr_write_b32 a128, v104
	v_pk_fma_f32 v[52:53], v[56:57], 2.0, v[26:27] op_sel_hi:[1,0,1] neg_lo:[0,0,1] neg_hi:[0,0,1]
	v_pk_mul_f32 v[56:57], v[54:55], v[98:99] op_sel:[0,1]
	v_accvgpr_write_b32 a124, v96
	v_pk_fma_f32 v[62:63], v[54:55], v[98:99], v[56:57] op_sel:[0,0,1] op_sel_hi:[1,1,0] neg_lo:[0,0,1] neg_hi:[0,0,1]
	v_pk_fma_f32 v[54:55], v[54:55], v[98:99], v[56:57] op_sel:[0,0,1] op_sel_hi:[1,0,0]
	v_accvgpr_write_b32 a126, v98
	v_mov_b32_e32 v63, v55
	v_pk_add_f32 v[54:55], v[58:59], v[62:63] neg_lo:[0,1] neg_hi:[0,1]
	s_nop 0
	v_pk_fma_f32 v[56:57], v[58:59], 2.0, v[54:55] op_sel_hi:[1,0,1] neg_lo:[0,0,1] neg_hi:[0,0,1]
	ds_write2_b64 v124, v[24:25], v[60:61] offset0:112 offset1:164
	ds_write2_b64 v95, v[64:65], v[70:71] offset0:88 offset1:140
	;; [unrolled: 1-line block ×8, first 2 shown]
	s_waitcnt lgkmcnt(0)
	; wave barrier
	s_waitcnt lgkmcnt(0)
	global_load_dwordx2 v[24:25], v68, s[8:9]
	v_add_co_u32_e64 v58, s[0:1], s12, v84
	s_nop 1
	v_addc_co_u32_e64 v59, s[0:1], 0, v85, s[0:1]
	global_load_dwordx2 v[56:57], v[58:59], off offset:896
	global_load_dwordx2 v[60:61], v68, s[8:9] offset:416
	global_load_dwordx2 v[62:63], v[58:59], off offset:1312
	global_load_dwordx2 v[64:65], v68, s[8:9] offset:832
	;; [unrolled: 2-line block ×4, first 2 shown]
	global_load_dwordx2 v[80:81], v5, s[8:9]
	global_load_dwordx2 v[82:83], v68, s[8:9] offset:2080
	global_load_dwordx2 v[88:89], v68, s[8:9] offset:2496
	global_load_dwordx2 v[86:87], v[58:59], off offset:2976
	ds_read2_b64 v[52:55], v100 offset1:52
	v_add_co_u32_e64 v26, s[0:1], s10, v84
	global_load_dwordx2 v[90:91], v[58:59], off offset:3392
	s_nop 0
	v_addc_co_u32_e64 v27, s[0:1], 0, v85, s[0:1]
	global_load_dwordx2 v[84:85], v[26:27], off offset:960
	global_load_dwordx2 v[112:113], v[26:27], off offset:1376
	global_load_dwordx2 v[120:121], v68, s[8:9] offset:2912
	global_load_dwordx2 v[122:123], v68, s[8:9] offset:3328
	v_mov_b32_e32 v5, v4
	s_waitcnt vmcnt(17) lgkmcnt(0)
	v_mul_f32_e32 v17, v53, v25
	v_mul_f32_e32 v117, v52, v25
	v_fma_f32 v116, v52, v24, -v17
	v_fmac_f32_e32 v117, v53, v24
	global_load_dwordx2 v[24:25], v[58:59], off offset:3808
	ds_write_b64 v100, v[116:117]
	ds_read2_b64 v[116:119], v124 offset0:112 offset1:164
	global_load_dwordx2 v[128:129], v[58:59], off offset:64
	global_load_dwordx2 v[130:131], v[58:59], off offset:480
	;; [unrolled: 1-line block ×3, first 2 shown]
	s_waitcnt vmcnt(20) lgkmcnt(0)
	v_mul_f32_e32 v17, v117, v57
	global_load_dwordx2 v[68:69], v68, s[8:9] offset:3744
	v_mul_f32_e32 v133, v116, v57
	global_load_dwordx2 v[26:27], v[26:27], off offset:544
	v_fma_f32 v132, v116, v56, -v17
	v_fmac_f32_e32 v133, v117, v56
	s_waitcnt vmcnt(21)
	v_mul_f32_e32 v17, v55, v61
	v_mul_f32_e32 v117, v54, v61
	v_fma_f32 v116, v54, v60, -v17
	v_fmac_f32_e32 v117, v55, v60
	ds_read2_b64 v[52:55], v100 offset0:104 offset1:156
	ds_read2_b64 v[56:59], v95 offset0:88 offset1:140
	s_waitcnt vmcnt(20)
	v_mul_f32_e32 v17, v119, v63
	v_fma_f32 v60, v118, v62, -v17
	v_mul_f32_e32 v61, v118, v63
	s_waitcnt vmcnt(19) lgkmcnt(1)
	v_mul_f32_e32 v17, v53, v65
	v_mul_f32_e32 v63, v52, v65
	v_fmac_f32_e32 v61, v119, v62
	v_fma_f32 v62, v52, v64, -v17
	v_fmac_f32_e32 v63, v53, v64
	s_waitcnt vmcnt(18) lgkmcnt(0)
	v_mul_f32_e32 v17, v57, v67
	v_mul_f32_e32 v53, v56, v67
	v_fma_f32 v52, v56, v66, -v17
	v_fmac_f32_e32 v53, v57, v66
	ds_write2_b64 v124, v[60:61], v[52:53] offset0:164 offset1:216
	s_waitcnt vmcnt(17)
	v_mul_f32_e32 v17, v55, v71
	v_mul_f32_e32 v61, v54, v71
	ds_write2_b64 v100, v[116:117], v[62:63] offset0:52 offset1:104
	v_fma_f32 v60, v54, v70, -v17
	v_fmac_f32_e32 v61, v55, v70
	ds_read2_b64 v[52:55], v126 offset0:80 offset1:132
	s_waitcnt vmcnt(16)
	v_mul_f32_e32 v17, v59, v77
	v_mul_f32_e32 v63, v58, v77
	v_fma_f32 v62, v58, v76, -v17
	v_fmac_f32_e32 v63, v59, v76
	ds_read2_b64 v[56:59], v125 offset0:64 offset1:116
	s_waitcnt vmcnt(15) lgkmcnt(1)
	v_mul_f32_e32 v17, v53, v79
	v_mul_f32_e32 v65, v52, v79
	v_fma_f32 v64, v52, v78, -v17
	v_fmac_f32_e32 v65, v53, v78
	s_waitcnt vmcnt(14) lgkmcnt(0)
	v_mul_f32_e32 v17, v57, v81
	v_mul_f32_e32 v53, v56, v81
	ds_write2_b64 v100, v[60:61], v[64:65] offset0:156 offset1:208
	v_fma_f32 v52, v56, v80, -v17
	v_fmac_f32_e32 v53, v57, v80
	s_waitcnt vmcnt(13)
	v_mul_f32_e32 v17, v55, v83
	v_mul_f32_e32 v61, v54, v83
	ds_write2_b64 v125, v[62:63], v[52:53] offset0:12 offset1:64
	v_fma_f32 v60, v54, v82, -v17
	v_fmac_f32_e32 v61, v55, v82
	ds_read2_b64 v[52:55], v92 offset0:56 offset1:108
	s_waitcnt vmcnt(11)
	v_mul_f32_e32 v17, v59, v87
	v_mul_f32_e32 v63, v58, v87
	v_fma_f32 v62, v58, v86, -v17
	v_fmac_f32_e32 v63, v59, v86
	ds_read2_b64 v[56:59], v125 offset0:168 offset1:220
	s_waitcnt lgkmcnt(1)
	v_mul_f32_e32 v17, v53, v89
	v_mul_f32_e32 v65, v52, v89
	v_fma_f32 v64, v52, v88, -v17
	v_fmac_f32_e32 v65, v53, v88
	s_waitcnt vmcnt(10) lgkmcnt(0)
	v_mul_f32_e32 v17, v57, v91
	v_mul_f32_e32 v53, v56, v91
	ds_write2_b64 v92, v[60:61], v[64:65] offset0:4 offset1:56
	v_fma_f32 v52, v56, v90, -v17
	v_fmac_f32_e32 v53, v57, v90
	s_waitcnt vmcnt(7)
	v_mul_f32_e32 v17, v55, v121
	v_mul_f32_e32 v61, v54, v121
	ds_write2_b64 v125, v[62:63], v[52:53] offset0:116 offset1:168
	v_fma_f32 v60, v54, v120, -v17
	v_fmac_f32_e32 v61, v55, v120
	ds_read2_b64 v[52:55], v92 offset0:160 offset1:212
	v_mov_b32_e32 v116, v22
	v_mov_b32_e32 v117, v22
	s_waitcnt vmcnt(5)
	v_mul_f32_e32 v17, v59, v25
	v_mul_f32_e32 v63, v58, v25
	v_fma_f32 v62, v58, v24, -v17
	v_fmac_f32_e32 v63, v59, v24
	ds_read2_b64 v[56:59], v94 offset0:16 offset1:68
	s_waitcnt lgkmcnt(1)
	v_mul_f32_e32 v17, v53, v123
	v_mul_f32_e32 v25, v52, v123
	v_fma_f32 v24, v52, v122, -v17
	v_fmac_f32_e32 v25, v53, v122
	ds_write2_b64 v92, v[60:61], v[24:25] offset0:108 offset1:160
	s_waitcnt vmcnt(2) lgkmcnt(1)
	v_mul_f32_e32 v17, v57, v135
	v_mul_f32_e32 v25, v56, v135
	v_fma_f32 v24, v56, v134, -v17
	v_fmac_f32_e32 v25, v57, v134
	ds_write2_b64 v35, v[62:63], v[24:25] offset0:92 offset1:144
	s_waitcnt vmcnt(1)
	v_mul_f32_e32 v17, v55, v69
	v_mul_f32_e32 v25, v54, v69
	v_fma_f32 v24, v54, v68, -v17
	v_fmac_f32_e32 v25, v55, v68
	ds_read2_b64 v[52:55], v124 offset0:8 offset1:60
	s_waitcnt vmcnt(0)
	v_mul_f32_e32 v17, v59, v27
	v_mul_f32_e32 v61, v58, v27
	v_fma_f32 v60, v58, v26, -v17
	v_fmac_f32_e32 v61, v59, v26
	ds_read2_b64 v[56:59], v94 offset0:120 offset1:172
	s_waitcnt lgkmcnt(1)
	v_mul_f32_e32 v17, v53, v129
	v_mul_f32_e32 v27, v52, v129
	v_fma_f32 v26, v52, v128, -v17
	v_fmac_f32_e32 v27, v53, v128
	ds_write2_b64 v31, v[24:25], v[26:27] offset0:84 offset1:136
	s_waitcnt lgkmcnt(1)
	v_mul_f32_e32 v17, v57, v85
	v_mul_f32_e32 v25, v56, v85
	v_fma_f32 v24, v56, v84, -v17
	v_fmac_f32_e32 v25, v57, v84
	ds_write2_b64 v94, v[60:61], v[24:25] offset0:68 offset1:120
	v_mul_f32_e32 v17, v55, v131
	v_mul_f32_e32 v25, v54, v131
	v_fma_f32 v24, v54, v130, -v17
	v_fmac_f32_e32 v25, v55, v130
	ds_write2_b64 v124, v[24:25], v[132:133] offset0:60 offset1:112
	v_mul_f32_e32 v17, v59, v113
	v_mul_f32_e32 v25, v58, v113
	v_fma_f32 v24, v58, v112, -v17
	v_fmac_f32_e32 v25, v59, v112
	ds_write_b64 v100, v[24:25] offset:9568
	s_waitcnt lgkmcnt(0)
	; wave barrier
	s_waitcnt lgkmcnt(0)
	ds_read2_b64 v[52:55], v100 offset1:52
	ds_read2_b64 v[56:59], v124 offset0:112 offset1:164
	v_accvgpr_read_b32 v17, a70
	ds_read2_b64 v[64:67], v100 offset0:104 offset1:156
	ds_read2_b64 v[68:71], v95 offset0:88 offset1:140
	;; [unrolled: 1-line block ×10, first 2 shown]
	s_waitcnt lgkmcnt(0)
	; wave barrier
	s_waitcnt lgkmcnt(0)
	v_pk_add_f32 v[62:63], v[52:53], v[56:57] neg_lo:[0,1] neg_hi:[0,1]
	v_pk_add_f32 v[56:57], v[54:55], v[58:59] neg_lo:[0,1] neg_hi:[0,1]
	v_pk_fma_f32 v[60:61], v[52:53], 2.0, v[62:63] op_sel_hi:[1,0,1] neg_lo:[0,0,1] neg_hi:[0,0,1]
	ds_write_b128 v17, v[60:63]
	v_pk_add_f32 v[60:61], v[64:65], v[68:69] neg_lo:[0,1] neg_hi:[0,1]
	v_pk_fma_f32 v[54:55], v[54:55], 2.0, v[56:57] op_sel_hi:[1,0,1] neg_lo:[0,0,1] neg_hi:[0,0,1]
	v_pk_fma_f32 v[58:59], v[64:65], 2.0, v[60:61] op_sel_hi:[1,0,1] neg_lo:[0,0,1] neg_hi:[0,0,1]
	v_pk_add_f32 v[64:65], v[66:67], v[70:71] neg_lo:[0,1] neg_hi:[0,1]
	v_accvgpr_read_b32 v24, a64
	v_pk_fma_f32 v[62:63], v[66:67], 2.0, v[64:65] op_sel_hi:[1,0,1] neg_lo:[0,0,1] neg_hi:[0,0,1]
	v_pk_add_f32 v[68:69], v[76:77], v[80:81] neg_lo:[0,1] neg_hi:[0,1]
	ds_write_b128 v93, v[54:57]
	ds_write_b128 v24, v[58:61]
	v_accvgpr_read_b32 v24, a66
	v_pk_fma_f32 v[66:67], v[76:77], 2.0, v[68:69] op_sel_hi:[1,0,1] neg_lo:[0,0,1] neg_hi:[0,0,1]
	v_pk_add_f32 v[80:81], v[78:79], v[82:83] neg_lo:[0,1] neg_hi:[0,1]
	ds_write_b128 v24, v[62:65]
	v_accvgpr_read_b32 v24, a67
	v_pk_fma_f32 v[78:79], v[78:79], 2.0, v[80:81] op_sel_hi:[1,0,1] neg_lo:[0,0,1] neg_hi:[0,0,1]
	v_pk_add_f32 v[142:143], v[84:85], v[88:89] neg_lo:[0,1] neg_hi:[0,1]
	;; [unrolled: 4-line block ×7, first 2 shown]
	ds_write_b128 v24, v[128:131]
	v_accvgpr_read_b32 v24, a53
	v_pk_fma_f32 v[134:135], v[134:135], 2.0, v[136:137] op_sel_hi:[1,0,1] neg_lo:[0,0,1] neg_hi:[0,0,1]
	ds_write_b128 v24, v[144:147]
	v_accvgpr_read_b32 v24, a55
	ds_write_b128 v24, v[134:137]
	s_waitcnt lgkmcnt(0)
	; wave barrier
	s_waitcnt lgkmcnt(0)
	ds_read2_b64 v[52:55], v125 offset0:168 offset1:220
	ds_read2_b64 v[76:79], v92 offset0:56 offset1:108
	;; [unrolled: 1-line block ×5, first 2 shown]
	s_waitcnt lgkmcnt(4)
	v_pk_mul_f32 v[24:25], v[72:73], v[52:53]
	ds_read2_b64 v[82:85], v125 offset0:64 offset1:116
	v_pk_fma_f32 v[26:27], v[74:75], v[52:53], v[24:25] op_sel:[0,0,1] op_sel_hi:[1,1,0]
	v_pk_fma_f32 v[24:25], v[74:75], v[52:53], v[24:25] op_sel:[0,0,1] op_sel_hi:[1,1,0] neg_lo:[0,0,1] neg_hi:[0,0,1]
	v_mov_b32_e32 v118, v23
	v_mov_b32_e32 v27, v25
	v_pk_mul_f32 v[24:25], v[72:73], v[54:55]
	s_waitcnt lgkmcnt(4)
	v_pk_add_f32 v[52:53], v[76:77], v[26:27] neg_lo:[0,1] neg_hi:[0,1]
	v_pk_fma_f32 v[26:27], v[74:75], v[54:55], v[24:25] op_sel:[0,0,1] op_sel_hi:[1,1,0]
	v_pk_fma_f32 v[24:25], v[74:75], v[54:55], v[24:25] op_sel:[0,0,1] op_sel_hi:[1,1,0] neg_lo:[0,0,1] neg_hi:[0,0,1]
	v_mov_b32_e32 v119, v23
	v_mov_b32_e32 v27, v25
	s_waitcnt lgkmcnt(3)
	v_pk_mul_f32 v[24:25], v[72:73], v[60:61]
	v_pk_add_f32 v[56:57], v[78:79], v[26:27] neg_lo:[0,1] neg_hi:[0,1]
	v_pk_fma_f32 v[26:27], v[74:75], v[60:61], v[24:25] op_sel:[0,0,1] op_sel_hi:[1,1,0]
	v_pk_fma_f32 v[24:25], v[74:75], v[60:61], v[24:25] op_sel:[0,0,1] op_sel_hi:[1,1,0] neg_lo:[0,0,1] neg_hi:[0,0,1]
	v_pk_fma_f32 v[54:55], v[78:79], 2.0, v[56:57] op_sel_hi:[1,0,1] neg_lo:[0,0,1] neg_hi:[0,0,1]
	v_mov_b32_e32 v27, v25
	v_pk_mul_f32 v[24:25], v[72:73], v[62:63]
	ds_read2_b64 v[78:81], v124 offset0:8 offset1:60
	s_waitcnt lgkmcnt(3)
	v_pk_add_f32 v[60:61], v[64:65], v[26:27] neg_lo:[0,1] neg_hi:[0,1]
	v_pk_fma_f32 v[26:27], v[74:75], v[62:63], v[24:25] op_sel:[0,0,1] op_sel_hi:[1,1,0]
	v_pk_fma_f32 v[24:25], v[74:75], v[62:63], v[24:25] op_sel:[0,0,1] op_sel_hi:[1,1,0] neg_lo:[0,0,1] neg_hi:[0,0,1]
	v_pk_fma_f32 v[58:59], v[64:65], 2.0, v[60:61] op_sel_hi:[1,0,1] neg_lo:[0,0,1] neg_hi:[0,0,1]
	v_mov_b32_e32 v27, v25
	s_waitcnt lgkmcnt(2)
	v_pk_mul_f32 v[24:25], v[72:73], v[68:69]
	v_pk_add_f32 v[64:65], v[66:67], v[26:27] neg_lo:[0,1] neg_hi:[0,1]
	v_pk_fma_f32 v[26:27], v[74:75], v[68:69], v[24:25] op_sel:[0,0,1] op_sel_hi:[1,1,0]
	v_pk_fma_f32 v[24:25], v[74:75], v[68:69], v[24:25] op_sel:[0,0,1] op_sel_hi:[1,1,0] neg_lo:[0,0,1] neg_hi:[0,0,1]
	v_pk_fma_f32 v[62:63], v[66:67], 2.0, v[64:65] op_sel_hi:[1,0,1] neg_lo:[0,0,1] neg_hi:[0,0,1]
	v_mov_b32_e32 v27, v25
	v_pk_mul_f32 v[24:25], v[72:73], v[70:71]
	s_waitcnt lgkmcnt(0)
	v_pk_add_f32 v[68:69], v[78:79], v[26:27] neg_lo:[0,1] neg_hi:[0,1]
	v_pk_fma_f32 v[26:27], v[74:75], v[70:71], v[24:25] op_sel:[0,0,1] op_sel_hi:[1,1,0]
	v_pk_fma_f32 v[24:25], v[74:75], v[70:71], v[24:25] op_sel:[0,0,1] op_sel_hi:[1,1,0] neg_lo:[0,0,1] neg_hi:[0,0,1]
	v_pk_fma_f32 v[66:67], v[78:79], 2.0, v[68:69] op_sel_hi:[1,0,1] neg_lo:[0,0,1] neg_hi:[0,0,1]
	v_mov_b32_e32 v27, v25
	v_pk_add_f32 v[148:149], v[80:81], v[26:27] neg_lo:[0,1] neg_hi:[0,1]
	v_pk_mul_f32 v[24:25], v[72:73], v[84:85]
	v_pk_fma_f32 v[70:71], v[80:81], 2.0, v[148:149] op_sel_hi:[1,0,1] neg_lo:[0,0,1] neg_hi:[0,0,1]
	ds_read2_b64 v[78:81], v126 offset0:80 offset1:132
	v_pk_fma_f32 v[26:27], v[74:75], v[84:85], v[24:25] op_sel:[0,0,1] op_sel_hi:[1,1,0]
	v_pk_fma_f32 v[24:25], v[74:75], v[84:85], v[24:25] op_sel:[0,0,1] op_sel_hi:[1,1,0] neg_lo:[0,0,1] neg_hi:[0,0,1]
	v_accvgpr_write_b32 a52, v148
	v_mov_b32_e32 v27, v25
	s_waitcnt lgkmcnt(0)
	v_pk_add_f32 v[24:25], v[80:81], v[26:27] neg_lo:[0,1] neg_hi:[0,1]
	v_mov_b32_e32 v17, v16
	v_pk_fma_f32 v[26:27], v[80:81], 2.0, v[24:25] op_sel_hi:[1,0,1] neg_lo:[0,0,1] neg_hi:[0,0,1]
	v_pk_mul_f32 v[80:81], v[72:73], v[82:83]
	v_mov_b32_e32 v112, v18
	v_pk_fma_f32 v[84:85], v[74:75], v[82:83], v[80:81] op_sel:[0,0,1] op_sel_hi:[1,1,0]
	v_pk_fma_f32 v[86:87], v[74:75], v[82:83], v[80:81] op_sel:[0,0,1] op_sel_hi:[1,1,0] neg_lo:[0,0,1] neg_hi:[0,0,1]
	ds_read2_b64 v[80:83], v95 offset0:88 offset1:140
	v_mov_b32_e32 v85, v87
	v_pk_add_f32 v[88:89], v[78:79], v[84:85] neg_lo:[0,1] neg_hi:[0,1]
	ds_read2_b64 v[84:87], v100 offset0:104 offset1:156
	v_pk_fma_f32 v[90:91], v[78:79], 2.0, v[88:89] op_sel_hi:[1,0,1] neg_lo:[0,0,1] neg_hi:[0,0,1]
	s_waitcnt lgkmcnt(1)
	v_pk_mul_f32 v[78:79], v[72:73], v[82:83]
	v_mov_b32_e32 v113, v18
	v_pk_fma_f32 v[94:95], v[74:75], v[82:83], v[78:79] op_sel:[0,0,1] op_sel_hi:[1,1,0]
	v_pk_fma_f32 v[78:79], v[74:75], v[82:83], v[78:79] op_sel:[0,0,1] op_sel_hi:[1,1,0] neg_lo:[0,0,1] neg_hi:[0,0,1]
	v_mov_b32_e32 v120, v19
	v_mov_b32_e32 v95, v79
	v_pk_mul_f32 v[78:79], v[72:73], v[80:81]
	s_waitcnt lgkmcnt(0)
	v_pk_add_f32 v[94:95], v[86:87], v[94:95] neg_lo:[0,1] neg_hi:[0,1]
	v_pk_fma_f32 v[82:83], v[74:75], v[80:81], v[78:79] op_sel:[0,0,1] op_sel_hi:[1,1,0]
	v_pk_fma_f32 v[122:123], v[74:75], v[80:81], v[78:79] op_sel:[0,0,1] op_sel_hi:[1,1,0] neg_lo:[0,0,1] neg_hi:[0,0,1]
	ds_read2_b64 v[78:81], v124 offset0:112 offset1:164
	v_mov_b32_e32 v83, v123
	v_pk_add_f32 v[122:123], v[84:85], v[82:83] neg_lo:[0,1] neg_hi:[0,1]
	v_pk_fma_f32 v[86:87], v[86:87], 2.0, v[94:95] op_sel_hi:[1,0,1] neg_lo:[0,0,1] neg_hi:[0,0,1]
	v_pk_fma_f32 v[128:129], v[84:85], 2.0, v[122:123] op_sel_hi:[1,0,1] neg_lo:[0,0,1] neg_hi:[0,0,1]
	ds_read2_b64 v[82:85], v100 offset1:52
	s_waitcnt lgkmcnt(1)
	v_pk_mul_f32 v[130:131], v[72:73], v[80:81]
	v_pk_mul_f32 v[72:73], v[72:73], v[78:79]
	v_pk_fma_f32 v[132:133], v[74:75], v[80:81], v[130:131] op_sel:[0,0,1] op_sel_hi:[1,1,0]
	v_pk_fma_f32 v[80:81], v[74:75], v[80:81], v[130:131] op_sel:[0,0,1] op_sel_hi:[1,1,0] neg_lo:[0,0,1] neg_hi:[0,0,1]
	v_pk_fma_f32 v[130:131], v[74:75], v[78:79], v[72:73] op_sel:[0,0,1] op_sel_hi:[1,1,0]
	v_pk_fma_f32 v[72:73], v[74:75], v[78:79], v[72:73] op_sel:[0,0,1] op_sel_hi:[1,1,0] neg_lo:[0,0,1] neg_hi:[0,0,1]
	v_mov_b32_e32 v133, v81
	v_mov_b32_e32 v131, v73
	s_waitcnt lgkmcnt(0)
	v_pk_add_f32 v[72:73], v[82:83], v[130:131] neg_lo:[0,1] neg_hi:[0,1]
	v_pk_add_f32 v[80:81], v[84:85], v[132:133] neg_lo:[0,1] neg_hi:[0,1]
	v_pk_fma_f32 v[74:75], v[82:83], 2.0, v[72:73] op_sel_hi:[1,0,1] neg_lo:[0,0,1] neg_hi:[0,0,1]
	v_pk_fma_f32 v[84:85], v[84:85], 2.0, v[80:81] op_sel_hi:[1,0,1] neg_lo:[0,0,1] neg_hi:[0,0,1]
	s_waitcnt lgkmcnt(0)
	; wave barrier
	ds_write2_b64 v37, v[74:75], v[72:73] offset1:2
	v_accvgpr_read_b32 v37, a68
	ds_write2_b64 v37, v[84:85], v[80:81] offset1:2
	v_accvgpr_read_b32 v37, a69
	;; [unrolled: 2-line block ×5, first 2 shown]
	ds_write2_b64 v37, v[26:27], v[24:25] offset1:2
	v_pk_fma_f32 v[24:25], v[76:77], 2.0, v[52:53] op_sel_hi:[1,0,1] neg_lo:[0,0,1] neg_hi:[0,0,1]
	v_accvgpr_read_b32 v26, a74
	ds_write2_b64 v26, v[24:25], v[52:53] offset1:2
	v_accvgpr_read_b32 v24, a75
	ds_write2_b64 v24, v[54:55], v[56:57] offset1:2
	;; [unrolled: 2-line block ×6, first 2 shown]
	s_waitcnt lgkmcnt(0)
	; wave barrier
	s_waitcnt lgkmcnt(0)
	ds_read2_b64 v[72:75], v100 offset1:96
	ds_read2_b64 v[76:79], v126 offset0:64 offset1:160
	ds_read2_b64 v[92:95], v92 offset0:128 offset1:224
	;; [unrolled: 1-line block ×3, first 2 shown]
	ds_read2_b64 v[84:87], v125 offset1:96
	ds_read2_b64 v[80:83], v35 offset0:64 offset1:160
	ds_read_b64 v[122:123], v100 offset:9216
	v_mov_b32_e32 v121, v19
	v_accvgpr_write_b32 a53, v149
	v_accvgpr_write_b32 a54, v150
	;; [unrolled: 1-line block ×7, first 2 shown]
	s_and_saveexec_b64 s[0:1], vcc
	s_cbranch_execz .LBB0_7
; %bb.6:
	ds_read2_b64 v[52:55], v100 offset0:52 offset1:148
	ds_read2_b64 v[56:59], v126 offset0:116 offset1:212
	;; [unrolled: 1-line block ×6, first 2 shown]
	ds_read_b64 a[76:77], v100 offset:9632
.LBB0_7:
	s_or_b64 exec, exec, s[0:1]
	s_waitcnt lgkmcnt(4)
	v_pk_mul_f32 v[24:25], v[244:245], v[92:93]
	s_mov_b32 s40, 0xbeedf032
	v_pk_fma_f32 v[26:27], v[242:243], v[92:93], v[24:25] op_sel:[0,0,1] op_sel_hi:[1,1,0]
	v_pk_fma_f32 v[24:25], v[242:243], v[92:93], v[24:25] op_sel:[0,0,1] op_sel_hi:[1,1,0] neg_lo:[0,0,1] neg_hi:[0,0,1]
	s_mov_b32 s0, 0x3f62ad3f
	v_mov_b32_e32 v27, v25
	v_pk_mul_f32 v[24:25], v[218:219], v[94:95]
	s_mov_b32 s18, 0xbf52af12
	v_pk_fma_f32 v[92:93], v[4:5], v[94:95], v[24:25] op_sel:[0,0,1] op_sel_hi:[1,1,0]
	v_pk_fma_f32 v[24:25], v[4:5], v[94:95], v[24:25] op_sel:[0,0,1] op_sel_hi:[1,1,0] neg_lo:[0,0,1] neg_hi:[0,0,1]
	s_mov_b32 s8, 0x3f116cb1
	v_mov_b32_e32 v93, v25
	s_waitcnt lgkmcnt(3)
	v_pk_mul_f32 v[24:25], v[248:249], v[88:89]
	s_mov_b32 s28, 0xbf7e222b
	v_pk_fma_f32 v[94:95], v[246:247], v[88:89], v[24:25] op_sel:[0,0,1] op_sel_hi:[1,1,0]
	v_pk_fma_f32 v[24:25], v[246:247], v[88:89], v[24:25] op_sel:[0,0,1] op_sel_hi:[1,1,0] neg_lo:[0,0,1] neg_hi:[0,0,1]
	s_mov_b32 s10, 0x3df6dbef
	v_mov_b32_e32 v95, v25
	v_pk_mul_f32 v[24:25], v[216:217], v[90:91]
	s_mov_b32 s12, 0xbeb58ec6
	v_pk_fma_f32 v[88:89], v[8:9], v[90:91], v[24:25] op_sel:[0,0,1] op_sel_hi:[1,1,0]
	v_pk_fma_f32 v[24:25], v[8:9], v[90:91], v[24:25] op_sel:[0,0,1] op_sel_hi:[1,1,0] neg_lo:[0,0,1] neg_hi:[0,0,1]
	s_mov_b32 s20, 0xbf29c268
	v_mov_b32_e32 v89, v25
	s_waitcnt lgkmcnt(2)
	v_pk_mul_f32 v[24:25], v[160:161], v[84:85]
	s_mov_b32 s14, 0xbf3f9e67
	v_pk_fma_f32 v[90:91], v[250:251], v[84:85], v[24:25] op_sel:[0,0,1] op_sel_hi:[1,1,0]
	v_pk_fma_f32 v[24:25], v[250:251], v[84:85], v[24:25] op_sel:[0,0,1] op_sel_hi:[1,1,0] neg_lo:[0,0,1] neg_hi:[0,0,1]
	v_pk_add_f32 v[180:181], v[94:95], v[88:89] neg_lo:[0,1] neg_hi:[0,1]
	v_mov_b32_e32 v91, v25
	v_pk_mul_f32 v[24:25], v[230:231], v[86:87]
	v_pk_add_f32 v[176:177], v[92:93], v[90:91] neg_lo:[0,1] neg_hi:[0,1]
	v_pk_fma_f32 v[84:85], v[20:21], v[86:87], v[24:25] op_sel:[0,0,1] op_sel_hi:[1,1,0]
	v_pk_fma_f32 v[24:25], v[20:21], v[86:87], v[24:25] op_sel:[0,0,1] op_sel_hi:[1,1,0] neg_lo:[0,0,1] neg_hi:[0,0,1]
	v_pk_add_f32 v[174:175], v[92:93], v[90:91]
	v_mov_b32_e32 v85, v25
	s_waitcnt lgkmcnt(1)
	v_pk_mul_f32 v[24:25], v[118:119], v[80:81]
	v_pk_add_f32 v[172:173], v[26:27], v[84:85]
	v_pk_fma_f32 v[86:87], v[116:117], v[80:81], v[24:25] op_sel:[0,0,1] op_sel_hi:[1,1,0]
	v_pk_fma_f32 v[24:25], v[116:117], v[80:81], v[24:25] op_sel:[0,0,1] op_sel_hi:[1,1,0] neg_lo:[0,0,1] neg_hi:[0,0,1]
	s_mov_b32 s24, 0xbe750f2a
	v_mov_b32_e32 v87, v25
	v_pk_mul_f32 v[24:25], v[220:221], v[82:83]
	v_pk_add_f32 v[178:179], v[94:95], v[88:89]
	v_pk_fma_f32 v[80:81], v[16:17], v[82:83], v[24:25] op_sel:[0,0,1] op_sel_hi:[1,1,0]
	v_pk_fma_f32 v[24:25], v[16:17], v[82:83], v[24:25] op_sel:[0,0,1] op_sel_hi:[1,1,0] neg_lo:[0,0,1] neg_hi:[0,0,1]
	s_mov_b32 s22, 0xbf788fa5
	v_mov_b32_e32 v81, v25
	s_waitcnt lgkmcnt(0)
	v_pk_mul_f32 v[24:25], v[120:121], v[122:123]
	s_nop 0
	v_pk_fma_f32 v[82:83], v[112:113], v[122:123], v[24:25] op_sel:[0,0,1] op_sel_hi:[1,1,0]
	v_pk_fma_f32 v[24:25], v[112:113], v[122:123], v[24:25] op_sel:[0,0,1] op_sel_hi:[1,1,0] neg_lo:[0,0,1] neg_hi:[0,0,1]
	; wave barrier
	s_nop 0
	v_mov_b32_e32 v83, v25
	v_pk_mul_f32 v[24:25], v[12:13], v[74:75] op_sel:[1,0]
	s_mov_b32 s34, 0x3f29c268
	v_pk_fma_f32 v[112:113], v[12:13], v[74:75], v[24:25] op_sel:[0,0,1] op_sel_hi:[1,1,0]
	v_pk_fma_f32 v[24:25], v[12:13], v[74:75], v[24:25] op_sel:[0,0,1] op_sel_hi:[0,1,0] neg_lo:[0,0,1] neg_hi:[0,0,1]
	v_mov_b32_e32 v113, v25
	v_pk_mul_f32 v[24:25], v[14:15], v[76:77] op_sel:[1,0]
	v_pk_add_f32 v[162:163], v[112:113], v[82:83] neg_lo:[0,1] neg_hi:[0,1]
	v_pk_fma_f32 v[74:75], v[14:15], v[76:77], v[24:25] op_sel:[0,0,1] op_sel_hi:[1,1,0]
	v_pk_fma_f32 v[24:25], v[14:15], v[76:77], v[24:25] op_sel:[0,0,1] op_sel_hi:[0,1,0] neg_lo:[0,0,1] neg_hi:[0,0,1]
	v_mov_b32_e32 v75, v25
	v_pk_mul_f32 v[24:25], v[0:1], v[78:79] op_sel:[1,0]
	v_pk_add_f32 v[160:161], v[112:113], v[82:83]
	v_pk_fma_f32 v[76:77], v[0:1], v[78:79], v[24:25] op_sel:[0,0,1] op_sel_hi:[1,1,0]
	v_pk_fma_f32 v[24:25], v[0:1], v[78:79], v[24:25] op_sel:[0,0,1] op_sel_hi:[0,1,0] neg_lo:[0,0,1] neg_hi:[0,0,1]
	v_mov_b32_e32 v77, v25
	v_pk_add_f32 v[24:25], v[72:73], v[112:113]
	v_pk_mul_f32 v[78:79], v[162:163], s[40:41] op_sel_hi:[1,0]
	v_pk_add_f32 v[166:167], v[74:75], v[80:81] neg_lo:[0,1] neg_hi:[0,1]
	v_pk_add_f32 v[24:25], v[24:25], v[74:75]
	v_pk_fma_f32 v[116:117], v[160:161], s[0:1], v[78:79] op_sel:[0,0,1] op_sel_hi:[1,0,0]
	v_pk_fma_f32 v[112:113], v[160:161], s[0:1], v[78:79] op_sel:[0,0,1] op_sel_hi:[1,0,0] neg_lo:[0,0,1] neg_hi:[0,0,1]
	v_pk_add_f32 v[164:165], v[74:75], v[80:81]
	v_pk_mul_f32 v[74:75], v[166:167], s[18:19] op_sel_hi:[1,0]
	v_pk_add_f32 v[170:171], v[76:77], v[86:87] neg_lo:[0,1] neg_hi:[0,1]
	v_pk_add_f32 v[24:25], v[24:25], v[76:77]
	v_mov_b32_e32 v78, v116
	v_mov_b32_e32 v79, v113
	v_pk_fma_f32 v[120:121], v[164:165], s[8:9], v[74:75] op_sel:[0,0,1] op_sel_hi:[1,0,0]
	v_pk_fma_f32 v[118:119], v[164:165], s[8:9], v[74:75] op_sel:[0,0,1] op_sel_hi:[1,0,0] neg_lo:[0,0,1] neg_hi:[0,0,1]
	v_pk_add_f32 v[168:169], v[76:77], v[86:87]
	v_pk_mul_f32 v[76:77], v[170:171], s[28:29] op_sel_hi:[1,0]
	v_pk_add_f32 v[78:79], v[72:73], v[78:79]
	v_mov_b32_e32 v74, v120
	v_mov_b32_e32 v75, v119
	v_pk_fma_f32 v[124:125], v[168:169], s[10:11], v[76:77] op_sel:[0,0,1] op_sel_hi:[1,0,0]
	v_pk_fma_f32 v[122:123], v[168:169], s[10:11], v[76:77] op_sel:[0,0,1] op_sel_hi:[1,0,0] neg_lo:[0,0,1] neg_hi:[0,0,1]
	v_pk_add_f32 v[24:25], v[24:25], v[26:27]
	v_pk_add_f32 v[74:75], v[74:75], v[78:79]
	v_mov_b32_e32 v76, v124
	v_mov_b32_e32 v77, v123
	v_pk_add_f32 v[26:27], v[26:27], v[84:85] neg_lo:[0,1] neg_hi:[0,1]
	v_pk_add_f32 v[74:75], v[76:77], v[74:75]
	v_pk_mul_f32 v[76:77], v[26:27], s[16:17] op_sel_hi:[1,0]
	v_pk_add_f32 v[24:25], v[24:25], v[92:93]
	v_pk_fma_f32 v[128:129], v[172:173], s[12:13], v[76:77] op_sel:[0,0,1] op_sel_hi:[1,0,0]
	v_pk_fma_f32 v[126:127], v[172:173], s[12:13], v[76:77] op_sel:[0,0,1] op_sel_hi:[1,0,0] neg_lo:[0,0,1] neg_hi:[0,0,1]
	v_mov_b32_e32 v76, v128
	v_mov_b32_e32 v77, v127
	v_pk_add_f32 v[24:25], v[24:25], v[94:95]
	v_pk_add_f32 v[74:75], v[76:77], v[74:75]
	v_pk_mul_f32 v[76:77], v[176:177], s[20:21] op_sel_hi:[1,0]
	v_pk_add_f32 v[24:25], v[24:25], v[88:89]
	v_pk_fma_f32 v[132:133], v[174:175], s[14:15], v[76:77] op_sel:[0,0,1] op_sel_hi:[1,0,0]
	v_pk_fma_f32 v[130:131], v[174:175], s[14:15], v[76:77] op_sel:[0,0,1] op_sel_hi:[1,0,0] neg_lo:[0,0,1] neg_hi:[0,0,1]
	v_pk_add_f32 v[24:25], v[24:25], v[90:91]
	v_mov_b32_e32 v76, v132
	v_mov_b32_e32 v77, v131
	v_pk_add_f32 v[24:25], v[24:25], v[84:85]
	v_pk_add_f32 v[74:75], v[76:77], v[74:75]
	v_pk_mul_f32 v[76:77], v[180:181], s[24:25] op_sel_hi:[1,0]
	v_pk_add_f32 v[24:25], v[24:25], v[86:87]
	v_pk_fma_f32 v[136:137], v[178:179], s[22:23], v[76:77] op_sel:[0,0,1] op_sel_hi:[1,0,0]
	v_pk_fma_f32 v[134:135], v[178:179], s[22:23], v[76:77] op_sel:[0,0,1] op_sel_hi:[1,0,0] neg_lo:[0,0,1] neg_hi:[0,0,1]
	v_pk_add_f32 v[24:25], v[24:25], v[80:81]
	v_mov_b32_e32 v76, v136
	v_mov_b32_e32 v77, v135
	v_pk_add_f32 v[24:25], v[24:25], v[82:83]
	v_pk_add_f32 v[74:75], v[76:77], v[74:75]
	ds_write2_b64 v101, v[24:25], v[74:75] offset1:4
	v_pk_mul_f32 v[24:25], v[162:163], s[18:19] op_sel_hi:[1,0]
	v_pk_mul_f32 v[78:79], v[166:167], s[16:17] op_sel_hi:[1,0]
	v_pk_fma_f32 v[76:77], v[160:161], s[8:9], v[24:25] op_sel:[0,0,1] op_sel_hi:[1,0,0]
	v_pk_fma_f32 v[74:75], v[160:161], s[8:9], v[24:25] op_sel:[0,0,1] op_sel_hi:[1,0,0] neg_lo:[0,0,1] neg_hi:[0,0,1]
	v_mov_b32_e32 v24, v76
	v_mov_b32_e32 v25, v75
	v_pk_fma_f32 v[144:145], v[164:165], s[12:13], v[78:79] op_sel:[0,0,1] op_sel_hi:[1,0,0]
	v_pk_fma_f32 v[142:143], v[164:165], s[12:13], v[78:79] op_sel:[0,0,1] op_sel_hi:[1,0,0] neg_lo:[0,0,1] neg_hi:[0,0,1]
	v_pk_add_f32 v[24:25], v[72:73], v[24:25]
	v_mov_b32_e32 v78, v144
	v_mov_b32_e32 v79, v143
	v_pk_add_f32 v[24:25], v[78:79], v[24:25]
	v_pk_mul_f32 v[78:79], v[170:171], s[24:25] op_sel_hi:[1,0]
	s_mov_b32 s30, 0x3eedf032
	v_pk_fma_f32 v[140:141], v[168:169], s[22:23], v[78:79] op_sel:[0,0,1] op_sel_hi:[1,0,0]
	v_pk_fma_f32 v[138:139], v[168:169], s[22:23], v[78:79] op_sel:[0,0,1] op_sel_hi:[1,0,0] neg_lo:[0,0,1] neg_hi:[0,0,1]
	v_mov_b32_e32 v78, v140
	v_mov_b32_e32 v79, v139
	v_pk_add_f32 v[24:25], v[78:79], v[24:25]
	v_pk_mul_f32 v[78:79], v[26:27], s[34:35] op_sel_hi:[1,0]
	v_pk_mul_f32 v[80:81], v[166:167], s[24:25] op_sel_hi:[1,0]
	v_pk_fma_f32 v[148:149], v[172:173], s[14:15], v[78:79] op_sel:[0,0,1] op_sel_hi:[1,0,0]
	v_pk_fma_f32 v[146:147], v[172:173], s[14:15], v[78:79] op_sel:[0,0,1] op_sel_hi:[1,0,0] neg_lo:[0,0,1] neg_hi:[0,0,1]
	v_mov_b32_e32 v78, v148
	v_mov_b32_e32 v79, v147
	v_pk_add_f32 v[24:25], v[78:79], v[24:25]
	v_pk_mul_f32 v[78:79], v[176:177], s[26:27] op_sel_hi:[1,0]
	v_pk_fma_f32 v[254:255], v[164:165], s[22:23], v[80:81] op_sel:[0,0,1] op_sel_hi:[1,0,0]
	v_pk_fma_f32 v[184:185], v[174:175], s[10:11], v[78:79] op_sel:[0,0,1] op_sel_hi:[1,0,0]
	v_pk_fma_f32 v[182:183], v[174:175], s[10:11], v[78:79] op_sel:[0,0,1] op_sel_hi:[1,0,0] neg_lo:[0,0,1] neg_hi:[0,0,1]
	v_mov_b32_e32 v78, v184
	v_mov_b32_e32 v79, v183
	v_pk_add_f32 v[24:25], v[78:79], v[24:25]
	v_pk_mul_f32 v[78:79], v[180:181], s[30:31] op_sel_hi:[1,0]
	v_pk_fma_f32 v[94:95], v[164:165], s[22:23], v[80:81] op_sel:[0,0,1] op_sel_hi:[1,0,0] neg_lo:[0,0,1] neg_hi:[0,0,1]
	v_pk_fma_f32 v[188:189], v[178:179], s[0:1], v[78:79] op_sel:[0,0,1] op_sel_hi:[1,0,0]
	v_pk_fma_f32 v[186:187], v[178:179], s[0:1], v[78:79] op_sel:[0,0,1] op_sel_hi:[1,0,0] neg_lo:[0,0,1] neg_hi:[0,0,1]
	v_mov_b32_e32 v78, v188
	v_mov_b32_e32 v79, v187
	v_pk_add_f32 v[24:25], v[78:79], v[24:25]
	v_pk_mul_f32 v[78:79], v[162:163], s[28:29] op_sel_hi:[1,0]
	v_mov_b32_e32 v80, v254
	v_pk_fma_f32 v[250:251], v[160:161], s[10:11], v[78:79] op_sel:[0,0,1] op_sel_hi:[1,0,0]
	v_pk_fma_f32 v[92:93], v[160:161], s[10:11], v[78:79] op_sel:[0,0,1] op_sel_hi:[1,0,0] neg_lo:[0,0,1] neg_hi:[0,0,1]
	v_mov_b32_e32 v78, v250
	v_mov_b32_e32 v79, v93
	v_pk_add_f32 v[78:79], v[72:73], v[78:79]
	v_mov_b32_e32 v81, v95
	s_mov_b32 s42, 0x3f6f5d39
	v_pk_add_f32 v[78:79], v[80:81], v[78:79]
	v_pk_mul_f32 v[80:81], v[170:171], s[42:43] op_sel_hi:[1,0]
	s_mov_b32 s38, 0x3e750f2a
	v_pk_fma_f32 v[242:243], v[168:169], s[12:13], v[80:81] op_sel:[0,0,1] op_sel_hi:[1,0,0]
	v_pk_fma_f32 v[90:91], v[168:169], s[12:13], v[80:81] op_sel:[0,0,1] op_sel_hi:[1,0,0] neg_lo:[0,0,1] neg_hi:[0,0,1]
	v_mov_b32_e32 v80, v242
	v_mov_b32_e32 v81, v91
	v_pk_add_f32 v[78:79], v[80:81], v[78:79]
	v_pk_mul_f32 v[80:81], v[26:27], s[30:31] op_sel_hi:[1,0]
	s_mov_b32 s36, 0x3f52af12
	v_pk_fma_f32 v[88:89], v[172:173], s[0:1], v[80:81] op_sel:[0,0,1] op_sel_hi:[1,0,0]
	v_pk_fma_f32 v[86:87], v[172:173], s[0:1], v[80:81] op_sel:[0,0,1] op_sel_hi:[1,0,0] neg_lo:[0,0,1] neg_hi:[0,0,1]
	v_mov_b32_e32 v80, v88
	v_mov_b32_e32 v81, v87
	v_pk_add_f32 v[78:79], v[80:81], v[78:79]
	v_pk_mul_f32 v[80:81], v[176:177], s[18:19] op_sel_hi:[1,0]
	v_pk_mul_f32 v[152:153], v[166:167], s[26:27] op_sel_hi:[1,0]
	v_pk_fma_f32 v[84:85], v[174:175], s[8:9], v[80:81] op_sel:[0,0,1] op_sel_hi:[1,0,0]
	v_pk_fma_f32 v[82:83], v[174:175], s[8:9], v[80:81] op_sel:[0,0,1] op_sel_hi:[1,0,0] neg_lo:[0,0,1] neg_hi:[0,0,1]
	v_mov_b32_e32 v80, v84
	v_mov_b32_e32 v81, v83
	v_pk_add_f32 v[244:245], v[80:81], v[78:79]
	v_pk_mul_f32 v[78:79], v[180:181], s[20:21] op_sel_hi:[1,0]
	v_pk_fma_f32 v[156:157], v[164:165], s[10:11], v[152:153] op_sel:[0,0,1] op_sel_hi:[1,0,0]
	v_pk_fma_f32 v[80:81], v[178:179], s[14:15], v[78:79] op_sel:[0,0,1] op_sel_hi:[1,0,0]
	v_pk_fma_f32 v[78:79], v[178:179], s[14:15], v[78:79] op_sel:[0,0,1] op_sel_hi:[1,0,0] neg_lo:[0,0,1] neg_hi:[0,0,1]
	v_mov_b32_e32 v246, v80
	v_mov_b32_e32 v247, v79
	v_pk_add_f32 v[244:245], v[246:247], v[244:245]
	ds_write2_b64 v101, v[24:25], v[244:245] offset0:8 offset1:12
	v_pk_mul_f32 v[24:25], v[162:163], s[16:17] op_sel_hi:[1,0]
	v_pk_mul_f32 v[246:247], v[166:167], s[34:35] op_sel_hi:[1,0]
	v_pk_fma_f32 v[248:249], v[160:161], s[12:13], v[24:25] op_sel:[0,0,1] op_sel_hi:[1,0,0]
	v_pk_fma_f32 v[24:25], v[160:161], s[12:13], v[24:25] op_sel:[0,0,1] op_sel_hi:[1,0,0] neg_lo:[0,0,1] neg_hi:[0,0,1]
	v_mov_b32_e32 v244, v248
	v_mov_b32_e32 v245, v25
	v_pk_fma_f32 v[106:107], v[164:165], s[14:15], v[246:247] op_sel:[0,0,1] op_sel_hi:[1,0,0]
	v_pk_fma_f32 v[252:253], v[164:165], s[14:15], v[246:247] op_sel:[0,0,1] op_sel_hi:[1,0,0] neg_lo:[0,0,1] neg_hi:[0,0,1]
	v_pk_add_f32 v[244:245], v[72:73], v[244:245]
	v_mov_b32_e32 v246, v106
	v_mov_b32_e32 v247, v253
	v_pk_add_f32 v[244:245], v[246:247], v[244:245]
	v_pk_mul_f32 v[246:247], v[170:171], s[30:31] op_sel_hi:[1,0]
	v_pk_fma_f32 v[152:153], v[164:165], s[10:11], v[152:153] op_sel:[0,0,1] op_sel_hi:[1,0,0] neg_lo:[0,0,1] neg_hi:[0,0,1]
	v_pk_fma_f32 v[190:191], v[168:169], s[0:1], v[246:247] op_sel:[0,0,1] op_sel_hi:[1,0,0]
	v_pk_fma_f32 v[114:115], v[168:169], s[0:1], v[246:247] op_sel:[0,0,1] op_sel_hi:[1,0,0] neg_lo:[0,0,1] neg_hi:[0,0,1]
	v_mov_b32_e32 v246, v190
	v_mov_b32_e32 v247, v115
	v_pk_add_f32 v[244:245], v[246:247], v[244:245]
	v_pk_mul_f32 v[246:247], v[26:27], s[28:29] op_sel_hi:[1,0]
	v_mov_b32_e32 v150, v156
	v_pk_fma_f32 v[234:235], v[172:173], s[10:11], v[246:247] op_sel:[0,0,1] op_sel_hi:[1,0,0]
	v_pk_fma_f32 v[192:193], v[172:173], s[10:11], v[246:247] op_sel:[0,0,1] op_sel_hi:[1,0,0] neg_lo:[0,0,1] neg_hi:[0,0,1]
	v_mov_b32_e32 v246, v234
	v_mov_b32_e32 v247, v193
	v_pk_add_f32 v[244:245], v[246:247], v[244:245]
	v_pk_mul_f32 v[246:247], v[176:177], s[38:39] op_sel_hi:[1,0]
	v_mov_b32_e32 v151, v153
	;; [unrolled: 7-line block ×4, first 2 shown]
	v_pk_fma_f32 v[110:111], v[160:161], s[14:15], v[246:247] op_sel:[0,0,1] op_sel_hi:[1,0,0]
	v_pk_fma_f32 v[246:247], v[160:161], s[14:15], v[246:247] op_sel:[0,0,1] op_sel_hi:[1,0,0] neg_lo:[0,0,1] neg_hi:[0,0,1]
	v_mov_b32_e32 v108, v110
	v_mov_b32_e32 v109, v247
	v_pk_add_f32 v[108:109], v[72:73], v[108:109]
	v_mov_b32_e32 v247, v111
	v_pk_add_f32 v[108:109], v[150:151], v[108:109]
	v_pk_mul_f32 v[150:151], v[170:171], s[18:19] op_sel_hi:[1,0]
	v_pk_mul_f32 v[170:171], v[170:171], s[20:21] op_sel_hi:[1,0]
	v_pk_fma_f32 v[158:159], v[168:169], s[8:9], v[150:151] op_sel:[0,0,1] op_sel_hi:[1,0,0]
	v_pk_fma_f32 v[150:151], v[168:169], s[8:9], v[150:151] op_sel:[0,0,1] op_sel_hi:[1,0,0] neg_lo:[0,0,1] neg_hi:[0,0,1]
	v_mov_b32_e32 v154, v158
	v_mov_b32_e32 v155, v151
	v_pk_add_f32 v[108:109], v[154:155], v[108:109]
	v_pk_mul_f32 v[154:155], v[26:27], s[38:39] op_sel_hi:[1,0]
	v_pk_mul_f32 v[26:27], v[26:27], s[36:37] op_sel_hi:[1,0]
	v_pk_fma_f32 v[96:97], v[172:173], s[22:23], v[154:155] op_sel:[0,0,1] op_sel_hi:[1,0,0]
	v_pk_fma_f32 v[154:155], v[172:173], s[22:23], v[154:155] op_sel:[0,0,1] op_sel_hi:[1,0,0] neg_lo:[0,0,1] neg_hi:[0,0,1]
	v_mov_b32_e32 v98, v96
	v_mov_b32_e32 v99, v155
	v_pk_add_f32 v[98:99], v[98:99], v[108:109]
	v_pk_mul_f32 v[108:109], v[176:177], s[30:31] op_sel_hi:[1,0]
	v_mov_b32_e32 v253, v107
	v_pk_fma_f32 v[208:209], v[174:175], s[0:1], v[108:109] op_sel:[0,0,1] op_sel_hi:[1,0,0]
	v_pk_fma_f32 v[108:109], v[174:175], s[0:1], v[108:109] op_sel:[0,0,1] op_sel_hi:[1,0,0] neg_lo:[0,0,1] neg_hi:[0,0,1]
	v_mov_b32_e32 v206, v208
	v_mov_b32_e32 v207, v109
	v_pk_add_f32 v[98:99], v[206:207], v[98:99]
	v_pk_mul_f32 v[206:207], v[180:181], s[16:17] op_sel_hi:[1,0]
	v_pk_add_f32 v[24:25], v[72:73], v[24:25]
	v_pk_fma_f32 v[212:213], v[178:179], s[12:13], v[206:207] op_sel:[0,0,1] op_sel_hi:[1,0,0]
	v_pk_fma_f32 v[206:207], v[178:179], s[12:13], v[206:207] op_sel:[0,0,1] op_sel_hi:[1,0,0] neg_lo:[0,0,1] neg_hi:[0,0,1]
	v_mov_b32_e32 v210, v212
	v_mov_b32_e32 v211, v207
	v_pk_add_f32 v[98:99], v[210:211], v[98:99]
	ds_write2_b64 v101, v[240:241], v[98:99] offset0:16 offset1:20
	v_pk_mul_f32 v[98:99], v[162:163], s[24:25] op_sel_hi:[1,0]
	v_mov_b32_e32 v151, v159
	v_pk_fma_f32 v[162:163], v[160:161], s[22:23], v[98:99] op_sel:[0,0,1] op_sel_hi:[1,0,0]
	v_pk_fma_f32 v[98:99], v[160:161], s[22:23], v[98:99] op_sel:[0,0,1] op_sel_hi:[1,0,0] neg_lo:[0,0,1] neg_hi:[0,0,1]
	v_pk_mul_f32 v[160:161], v[166:167], s[30:31] op_sel_hi:[1,0]
	v_pk_add_f32 v[24:25], v[252:253], v[24:25]
	v_pk_fma_f32 v[166:167], v[164:165], s[0:1], v[160:161] op_sel:[0,0,1] op_sel_hi:[1,0,0]
	v_pk_fma_f32 v[160:161], v[164:165], s[0:1], v[160:161] op_sel:[0,0,1] op_sel_hi:[1,0,0] neg_lo:[0,0,1] neg_hi:[0,0,1]
	v_mov_b32_e32 v164, v162
	v_mov_b32_e32 v165, v99
	v_pk_add_f32 v[164:165], v[72:73], v[164:165]
	v_mov_b32_e32 v210, v166
	v_mov_b32_e32 v211, v161
	v_pk_add_f32 v[164:165], v[210:211], v[164:165]
	v_pk_fma_f32 v[210:211], v[168:169], s[14:15], v[170:171] op_sel:[0,0,1] op_sel_hi:[1,0,0]
	v_pk_fma_f32 v[168:169], v[168:169], s[14:15], v[170:171] op_sel:[0,0,1] op_sel_hi:[1,0,0] neg_lo:[0,0,1] neg_hi:[0,0,1]
	v_mov_b32_e32 v170, v210
	v_mov_b32_e32 v171, v169
	v_pk_add_f32 v[164:165], v[170:171], v[164:165]
	v_pk_fma_f32 v[170:171], v[172:173], s[8:9], v[26:27] op_sel:[0,0,1] op_sel_hi:[1,0,0]
	v_pk_fma_f32 v[26:27], v[172:173], s[8:9], v[26:27] op_sel:[0,0,1] op_sel_hi:[1,0,0] neg_lo:[0,0,1] neg_hi:[0,0,1]
	v_mov_b32_e32 v172, v170
	v_mov_b32_e32 v173, v27
	v_pk_add_f32 v[164:165], v[172:173], v[164:165]
	v_pk_mul_f32 v[172:173], v[176:177], s[16:17] op_sel_hi:[1,0]
	v_mov_b32_e32 v99, v163
	v_pk_fma_f32 v[176:177], v[174:175], s[12:13], v[172:173] op_sel:[0,0,1] op_sel_hi:[1,0,0]
	v_pk_fma_f32 v[172:173], v[174:175], s[12:13], v[172:173] op_sel:[0,0,1] op_sel_hi:[1,0,0] neg_lo:[0,0,1] neg_hi:[0,0,1]
	v_mov_b32_e32 v161, v167
	v_pk_add_f32 v[98:99], v[72:73], v[98:99]
	v_mov_b32_e32 v174, v176
	v_mov_b32_e32 v175, v173
	v_pk_add_f32 v[98:99], v[160:161], v[98:99]
	v_mov_b32_e32 v169, v211
	v_pk_add_f32 v[164:165], v[174:175], v[164:165]
	v_pk_mul_f32 v[174:175], v[180:181], s[26:27] op_sel_hi:[1,0]
	v_pk_add_f32 v[98:99], v[168:169], v[98:99]
	v_mov_b32_e32 v27, v171
	v_pk_fma_f32 v[180:181], v[178:179], s[10:11], v[174:175] op_sel:[0,0,1] op_sel_hi:[1,0,0]
	v_pk_fma_f32 v[174:175], v[178:179], s[10:11], v[174:175] op_sel:[0,0,1] op_sel_hi:[1,0,0] neg_lo:[0,0,1] neg_hi:[0,0,1]
	v_pk_add_f32 v[26:27], v[26:27], v[98:99]
	v_mov_b32_e32 v173, v177
	v_mov_b32_e32 v178, v180
	;; [unrolled: 1-line block ×3, first 2 shown]
	v_pk_add_f32 v[26:27], v[172:173], v[26:27]
	v_mov_b32_e32 v175, v181
	v_pk_add_f32 v[164:165], v[178:179], v[164:165]
	v_pk_add_f32 v[26:27], v[174:175], v[26:27]
	ds_write2_b64 v101, v[164:165], v[26:27] offset0:24 offset1:28
	v_pk_add_f32 v[26:27], v[72:73], v[246:247]
	v_mov_b32_e32 v115, v191
	v_pk_add_f32 v[26:27], v[152:153], v[26:27]
	v_mov_b32_e32 v155, v97
	v_pk_add_f32 v[26:27], v[150:151], v[26:27]
	v_pk_add_f32 v[24:25], v[114:115], v[24:25]
	v_mov_b32_e32 v193, v235
	v_pk_add_f32 v[26:27], v[154:155], v[26:27]
	v_mov_b32_e32 v109, v209
	;; [unrolled: 2-line block ×5, first 2 shown]
	v_pk_add_f32 v[26:27], v[206:207], v[26:27]
	v_pk_add_f32 v[24:25], v[244:245], v[24:25]
	v_mov_b32_e32 v93, v251
	ds_write2_b64 v101, v[26:27], v[24:25] offset0:32 offset1:36
	v_mov_b32_e32 v95, v255
	v_pk_add_f32 v[24:25], v[72:73], v[92:93]
	v_mov_b32_e32 v91, v243
	v_pk_add_f32 v[24:25], v[94:95], v[24:25]
	v_accvgpr_read_b32 v26, a138
	v_accvgpr_read_b32 v155, a109
	v_pk_add_f32 v[24:25], v[90:91], v[24:25]
	v_mov_b32_e32 v87, v89
	v_accvgpr_read_b32 v27, a139
	v_accvgpr_read_b32 v154, a108
	v_pk_add_f32 v[24:25], v[86:87], v[24:25]
	v_mov_b32_e32 v86, v26
	v_mov_b32_e32 v87, v26
	;; [unrolled: 1-line block ×3, first 2 shown]
	v_accvgpr_write_b32 a109, v27
	v_mov_b32_e32 v75, v77
	v_accvgpr_write_b32 a108, v26
	v_mov_b32_e32 v143, v145
	v_pk_add_f32 v[26:27], v[72:73], v[74:75]
	v_mov_b32_e32 v139, v141
	v_pk_add_f32 v[26:27], v[142:143], v[26:27]
	;; [unrolled: 2-line block ×7, first 2 shown]
	v_pk_add_f32 v[26:27], v[186:187], v[26:27]
	v_mov_b32_e32 v113, v117
	ds_write2_b64 v101, v[24:25], v[26:27] offset0:40 offset1:44
	v_pk_add_f32 v[24:25], v[72:73], v[112:113]
	v_mov_b32_e32 v119, v121
	v_pk_add_f32 v[24:25], v[118:119], v[24:25]
	v_mov_b32_e32 v123, v125
	;; [unrolled: 2-line block ×3, first 2 shown]
	v_accvgpr_read_b32 v157, a111
	v_accvgpr_read_b32 v153, a107
	v_accvgpr_read_b32 v111, a101
	v_accvgpr_read_b32 v151, a105
	v_accvgpr_read_b32 v115, a103
	v_accvgpr_read_b32 v98, a98
	v_accvgpr_read_b32 v96, a96
	v_accvgpr_read_b32 v107, a95
	v_accvgpr_read_b32 v109, a93
	v_accvgpr_mov_b32 a59, a58
	v_accvgpr_mov_b32 a57, a56
	;; [unrolled: 1-line block ×6, first 2 shown]
	v_accvgpr_read_b32 v241, a137
	v_accvgpr_read_b32 v239, a135
	;; [unrolled: 1-line block ×7, first 2 shown]
	v_pk_add_f32 v[24:25], v[126:127], v[24:25]
	v_mov_b32_e32 v131, v133
	v_accvgpr_read_b32 v156, a110
	v_accvgpr_read_b32 v152, a106
	;; [unrolled: 1-line block ×9, first 2 shown]
	v_accvgpr_mov_b32 a141, a59
	v_accvgpr_read_b32 v210, a122
	v_accvgpr_read_b32 v211, a122
	v_accvgpr_mov_b32 a111, a57
	v_accvgpr_read_b32 v208, a120
	v_accvgpr_read_b32 v209, a120
	;; [unrolled: 3-line block ×3, first 2 shown]
	v_accvgpr_mov_b32 a123, a65
	v_accvgpr_mov_b32 a121, a63
	;; [unrolled: 1-line block ×3, first 2 shown]
	v_accvgpr_read_b32 v240, a136
	v_accvgpr_read_b32 v238, a134
	;; [unrolled: 1-line block ×7, first 2 shown]
	v_pk_add_f32 v[24:25], v[130:131], v[24:25]
	v_mov_b32_e32 v135, v137
	v_mov_b32_e32 v160, v102
	;; [unrolled: 1-line block ×35, first 2 shown]
	v_accvgpr_mov_b32 a140, a58
	v_mov_b32_e32 v43, v42
	v_mov_b32_e32 v37, v36
	v_accvgpr_mov_b32 a110, a56
	v_mov_b32_e32 v39, v38
	v_mov_b32_e32 v49, v48
	;; [unrolled: 3-line block ×3, first 2 shown]
	v_accvgpr_mov_b32 a122, a64
	v_mov_b32_e32 v47, v46
	v_accvgpr_read_b32 v192, a116
	v_accvgpr_read_b32 v193, a116
	v_mov_b32_e32 v33, v32
	v_accvgpr_mov_b32 a120, a62
	v_mov_b32_e32 v35, v34
	v_accvgpr_read_b32 v190, a114
	v_accvgpr_read_b32 v191, a114
	v_mov_b32_e32 v29, v28
	v_accvgpr_mov_b32 a118, a60
	v_mov_b32_e32 v31, v30
	v_accvgpr_read_b32 v158, a112
	v_accvgpr_read_b32 v159, a112
	v_mov_b32_e32 v252, v204
	v_mov_b32_e32 v253, v204
	v_mov_b32_e32 v204, v205
	;; [unrolled: 1-line block ×50, first 2 shown]
	v_pk_add_f32 v[24:25], v[134:135], v[24:25]
	ds_write_b64 v101, v[24:25] offset:384
	s_and_saveexec_b64 s[44:45], vcc
	s_cbranch_execz .LBB0_9
; %bb.8:
	v_accvgpr_read_b32 v121, a77
	v_accvgpr_read_b32 v125, a55
	v_mov_b32_e32 v17, v220
	v_accvgpr_read_b32 v120, a76
	v_accvgpr_read_b32 v124, a54
	v_accvgpr_write_b32 a56, v96
	v_accvgpr_read_b32 v101, a90
	v_pk_mul_f32 v[26:27], v[18:19], v[120:121] op_sel:[0,1]
	v_accvgpr_read_b32 v123, a53
	v_accvgpr_read_b32 v122, a52
	v_accvgpr_write_b32 a57, v97
	v_pk_mul_f32 v[96:97], v[16:17], v[124:125] op_sel:[0,1]
	v_mul_u32_u24_e32 v101, 52, v101
	v_accvgpr_read_b32 v118, a17
	v_mov_b32_e32 v21, v230
	v_pk_mul_f32 v[104:105], v[22:23], v[122:123] op_sel:[0,1]
	v_accvgpr_write_b32 a54, v106
	v_accvgpr_write_b32 a52, v108
	v_or_b32_e32 v101, v101, v118
	v_pk_fma_f32 v[118:119], v[18:19], v[120:121], v[26:27] op_sel:[0,0,1] op_sel_hi:[1,1,0]
	v_pk_fma_f32 v[18:19], v[18:19], v[120:121], v[26:27] op_sel:[0,0,1] op_sel_hi:[1,0,0] neg_lo:[1,0,0] neg_hi:[1,0,0]
	v_pk_fma_f32 v[26:27], v[16:17], v[124:125], v[96:97] op_sel:[0,0,1] op_sel_hi:[1,1,0]
	v_pk_fma_f32 v[16:17], v[16:17], v[124:125], v[96:97] op_sel:[0,0,1] op_sel_hi:[1,0,0] neg_lo:[1,0,0] neg_hi:[1,0,0]
	v_accvgpr_write_b32 a55, v107
	v_pk_mul_f32 v[106:107], v[2:3], v[60:61] op_sel:[0,1]
	v_accvgpr_write_b32 a53, v109
	v_pk_mul_f32 v[108:109], v[20:21], v[70:71] op_sel:[0,1]
	v_mov_b32_e32 v27, v17
	v_pk_fma_f32 v[96:97], v[22:23], v[122:123], v[104:105] op_sel:[0,0,1] op_sel_hi:[1,1,0]
	v_pk_fma_f32 v[16:17], v[22:23], v[122:123], v[104:105] op_sel:[0,0,1] op_sel_hi:[1,0,0] neg_lo:[1,0,0] neg_hi:[1,0,0]
	v_mov_b32_e32 v5, v218
	v_accvgpr_write_b32 a60, v110
	v_pk_mul_f32 v[112:113], v[10:11], v[68:69] op_sel:[0,1]
	v_mov_b32_e32 v97, v17
	v_pk_fma_f32 v[104:105], v[20:21], v[70:71], v[108:109] op_sel:[0,0,1] op_sel_hi:[1,1,0]
	v_pk_fma_f32 v[16:17], v[20:21], v[70:71], v[108:109] op_sel:[0,0,1] op_sel_hi:[1,0,0] neg_lo:[1,0,0] neg_hi:[1,0,0]
	v_pk_fma_f32 v[70:71], v[2:3], v[60:61], v[106:107] op_sel:[0,0,1] op_sel_hi:[1,1,0]
	v_pk_fma_f32 v[2:3], v[2:3], v[60:61], v[106:107] op_sel:[0,0,1] op_sel_hi:[1,0,0] neg_lo:[1,0,0] neg_hi:[1,0,0]
	v_mov_b32_e32 v9, v216
	v_accvgpr_write_b32 a61, v111
	v_pk_mul_f32 v[110:111], v[4:5], v[62:63] op_sel:[0,1]
	v_mov_b32_e32 v71, v3
	v_pk_fma_f32 v[60:61], v[10:11], v[68:69], v[112:113] op_sel:[0,0,1] op_sel_hi:[1,1,0]
	v_pk_fma_f32 v[2:3], v[10:11], v[68:69], v[112:113] op_sel:[0,0,1] op_sel_hi:[1,0,0] neg_lo:[1,0,0] neg_hi:[1,0,0]
	v_accvgpr_write_b32 a62, v114
	v_pk_mul_f32 v[116:117], v[8:9], v[66:67] op_sel:[0,1]
	v_mov_b32_e32 v61, v3
	v_pk_fma_f32 v[68:69], v[4:5], v[62:63], v[110:111] op_sel:[0,0,1] op_sel_hi:[1,1,0]
	v_pk_fma_f32 v[2:3], v[4:5], v[62:63], v[110:111] op_sel:[0,0,1] op_sel_hi:[1,0,0] neg_lo:[1,0,0] neg_hi:[1,0,0]
	;; [unrolled: 5-line block ×3, first 2 shown]
	v_pk_mul_f32 v[24:25], v[12:13], v[54:55] op_sel:[0,1]
	v_mov_b32_e32 v63, v3
	v_pk_fma_f32 v[66:67], v[6:7], v[64:65], v[114:115] op_sel:[0,0,1] op_sel_hi:[1,1,0]
	v_pk_fma_f32 v[2:3], v[6:7], v[64:65], v[114:115] op_sel:[0,0,1] op_sel_hi:[1,0,0] neg_lo:[1,0,0] neg_hi:[1,0,0]
	v_accvgpr_write_b32 a58, v98
	v_mov_b32_e32 v67, v3
	v_pk_fma_f32 v[2:3], v[12:13], v[54:55], v[24:25] op_sel:[0,0,1] op_sel_hi:[1,1,0]
	v_pk_fma_f32 v[4:5], v[12:13], v[54:55], v[24:25] op_sel:[0,0,1] op_sel_hi:[1,0,0] neg_lo:[1,0,0] neg_hi:[1,0,0]
	v_pk_mul_f32 v[72:73], v[14:15], v[56:57] op_sel:[0,1]
	v_accvgpr_write_b32 a59, v99
	v_pk_mul_f32 v[98:99], v[0:1], v[58:59] op_sel:[0,1]
	v_mov_b32_e32 v119, v19
	v_mov_b32_e32 v3, v5
	v_pk_fma_f32 v[24:25], v[14:15], v[56:57], v[72:73] op_sel:[0,0,1] op_sel_hi:[1,1,0]
	v_pk_fma_f32 v[4:5], v[14:15], v[56:57], v[72:73] op_sel:[0,0,1] op_sel_hi:[1,0,0] neg_lo:[1,0,0] neg_hi:[1,0,0]
	v_pk_fma_f32 v[54:55], v[0:1], v[58:59], v[98:99] op_sel:[0,0,1] op_sel_hi:[1,1,0]
	v_pk_fma_f32 v[0:1], v[0:1], v[58:59], v[98:99] op_sel:[0,0,1] op_sel_hi:[1,0,0] neg_lo:[1,0,0] neg_hi:[1,0,0]
	v_pk_add_f32 v[58:59], v[2:3], v[118:119] neg_lo:[0,1] neg_hi:[0,1]
	v_mov_b32_e32 v25, v5
	v_pk_add_f32 v[56:57], v[2:3], v[52:53]
	v_pk_add_f32 v[64:65], v[118:119], v[2:3]
	v_pk_mul_f32 v[2:3], v[58:59], s[40:41] op_sel_hi:[1,0]
	v_pk_add_f32 v[72:73], v[24:25], v[26:27] neg_lo:[0,1] neg_hi:[0,1]
	v_pk_fma_f32 v[4:5], v[64:65], s[0:1], v[2:3] op_sel:[0,0,1] op_sel_hi:[1,0,0]
	v_pk_fma_f32 v[2:3], v[64:65], s[0:1], v[2:3] op_sel:[0,0,1] op_sel_hi:[1,0,0] neg_lo:[0,0,1] neg_hi:[0,0,1]
	v_pk_add_f32 v[98:99], v[26:27], v[24:25]
	v_accvgpr_write_b32 a17, v5
	v_mov_b32_e32 v5, v3
	v_pk_mul_f32 v[6:7], v[72:73], s[18:19] op_sel_hi:[1,0]
	v_mov_b32_e32 v55, v1
	v_pk_add_f32 v[8:9], v[52:53], v[4:5]
	v_pk_fma_f32 v[4:5], v[98:99], s[8:9], v[6:7] op_sel:[0,0,1] op_sel_hi:[1,0,0]
	v_pk_fma_f32 v[6:7], v[98:99], s[8:9], v[6:7] op_sel:[0,0,1] op_sel_hi:[1,0,0] neg_lo:[0,0,1] neg_hi:[0,0,1]
	v_pk_add_f32 v[106:107], v[54:55], v[96:97] neg_lo:[0,1] neg_hi:[0,1]
	v_mov_b32_e32 v10, v4
	v_mov_b32_e32 v11, v7
	v_pk_add_f32 v[108:109], v[96:97], v[54:55]
	v_pk_add_f32 v[12:13], v[10:11], v[8:9]
	v_pk_mul_f32 v[10:11], v[106:107], s[28:29] op_sel_hi:[1,0]
	v_mov_b32_e32 v105, v17
	v_pk_fma_f32 v[8:9], v[108:109], s[10:11], v[10:11] op_sel:[0,0,1] op_sel_hi:[1,0,0]
	v_pk_fma_f32 v[10:11], v[108:109], s[10:11], v[10:11] op_sel:[0,0,1] op_sel_hi:[1,0,0] neg_lo:[0,0,1] neg_hi:[0,0,1]
	v_pk_add_f32 v[110:111], v[70:71], v[104:105] neg_lo:[0,1] neg_hi:[0,1]
	v_mov_b32_e32 v14, v8
	v_mov_b32_e32 v15, v11
	v_pk_add_f32 v[24:25], v[24:25], v[56:57]
	v_pk_add_f32 v[112:113], v[104:105], v[70:71]
	v_pk_add_f32 v[16:17], v[14:15], v[12:13]
	v_pk_mul_f32 v[14:15], v[110:111], s[16:17] op_sel_hi:[1,0]
	v_pk_add_f32 v[24:25], v[54:55], v[24:25]
	v_pk_fma_f32 v[12:13], v[112:113], s[12:13], v[14:15] op_sel:[0,0,1] op_sel_hi:[1,0,0]
	v_pk_fma_f32 v[14:15], v[112:113], s[12:13], v[14:15] op_sel:[0,0,1] op_sel_hi:[1,0,0] neg_lo:[0,0,1] neg_hi:[0,0,1]
	v_pk_add_f32 v[24:25], v[70:71], v[24:25]
	v_pk_add_f32 v[114:115], v[68:69], v[60:61] neg_lo:[0,1] neg_hi:[0,1]
	v_mov_b32_e32 v18, v12
	v_mov_b32_e32 v19, v15
	v_pk_add_f32 v[24:25], v[68:69], v[24:25]
	v_pk_add_f32 v[116:117], v[60:61], v[68:69]
	v_pk_add_f32 v[20:21], v[18:19], v[16:17]
	v_pk_mul_f32 v[18:19], v[114:115], s[20:21] op_sel_hi:[1,0]
	v_pk_add_f32 v[24:25], v[66:67], v[24:25]
	v_pk_fma_f32 v[16:17], v[116:117], s[14:15], v[18:19] op_sel:[0,0,1] op_sel_hi:[1,0,0]
	v_pk_fma_f32 v[18:19], v[116:117], s[14:15], v[18:19] op_sel:[0,0,1] op_sel_hi:[1,0,0] neg_lo:[0,0,1] neg_hi:[0,0,1]
	v_pk_add_f32 v[24:25], v[62:63], v[24:25]
	;; [unrolled: 11-line block ×3, first 2 shown]
	v_mov_b32_e32 v126, v20
	v_mov_b32_e32 v127, v23
	v_pk_add_f32 v[24:25], v[26:27], v[24:25]
	v_lshlrev_b32_e32 v101, 3, v101
	v_pk_add_f32 v[124:125], v[126:127], v[124:125]
	v_pk_add_f32 v[24:25], v[118:119], v[24:25]
	v_pk_mul_f32 v[26:27], v[58:59], s[18:19] op_sel_hi:[1,0]
	ds_write2_b64 v101, v[24:25], v[124:125] offset1:4
	v_pk_fma_f32 v[24:25], v[64:65], s[8:9], v[26:27] op_sel:[0,0,1] op_sel_hi:[1,0,0]
	v_pk_fma_f32 v[26:27], v[64:65], s[8:9], v[26:27] op_sel:[0,0,1] op_sel_hi:[1,0,0] neg_lo:[0,0,1] neg_hi:[0,0,1]
	v_mov_b32_e32 v54, v24
	v_mov_b32_e32 v55, v27
	v_pk_mul_f32 v[56:57], v[72:73], s[16:17] op_sel_hi:[1,0]
	v_pk_add_f32 v[60:61], v[52:53], v[54:55]
	v_pk_fma_f32 v[54:55], v[98:99], s[12:13], v[56:57] op_sel:[0,0,1] op_sel_hi:[1,0,0]
	v_pk_fma_f32 v[56:57], v[98:99], s[12:13], v[56:57] op_sel:[0,0,1] op_sel_hi:[1,0,0] neg_lo:[0,0,1] neg_hi:[0,0,1]
	v_mov_b32_e32 v62, v54
	v_mov_b32_e32 v63, v57
	v_pk_add_f32 v[60:61], v[62:63], v[60:61]
	v_pk_mul_f32 v[62:63], v[106:107], s[24:25] op_sel_hi:[1,0]
	v_pk_mul_f32 v[132:133], v[72:73], s[24:25] op_sel_hi:[1,0]
	v_pk_fma_f32 v[66:67], v[108:109], s[22:23], v[62:63] op_sel:[0,0,1] op_sel_hi:[1,0,0]
	v_pk_fma_f32 v[62:63], v[108:109], s[22:23], v[62:63] op_sel:[0,0,1] op_sel_hi:[1,0,0] neg_lo:[0,0,1] neg_hi:[0,0,1]
	v_mov_b32_e32 v68, v66
	v_mov_b32_e32 v69, v63
	v_pk_add_f32 v[60:61], v[68:69], v[60:61]
	v_pk_mul_f32 v[68:69], v[110:111], s[34:35] op_sel_hi:[1,0]
	v_pk_fma_f32 v[134:135], v[98:99], s[22:23], v[132:133] op_sel:[0,0,1] op_sel_hi:[1,0,0]
	v_pk_fma_f32 v[70:71], v[112:113], s[14:15], v[68:69] op_sel:[0,0,1] op_sel_hi:[1,0,0]
	v_pk_fma_f32 v[68:69], v[112:113], s[14:15], v[68:69] op_sel:[0,0,1] op_sel_hi:[1,0,0] neg_lo:[0,0,1] neg_hi:[0,0,1]
	v_mov_b32_e32 v96, v70
	v_mov_b32_e32 v97, v69
	v_pk_add_f32 v[60:61], v[96:97], v[60:61]
	v_pk_mul_f32 v[96:97], v[114:115], s[26:27] op_sel_hi:[1,0]
	v_pk_fma_f32 v[132:133], v[98:99], s[22:23], v[132:133] op_sel:[0,0,1] op_sel_hi:[1,0,0] neg_lo:[0,0,1] neg_hi:[0,0,1]
	v_pk_fma_f32 v[104:105], v[116:117], s[10:11], v[96:97] op_sel:[0,0,1] op_sel_hi:[1,0,0]
	v_pk_fma_f32 v[96:97], v[116:117], s[10:11], v[96:97] op_sel:[0,0,1] op_sel_hi:[1,0,0] neg_lo:[0,0,1] neg_hi:[0,0,1]
	v_mov_b32_e32 v118, v104
	v_mov_b32_e32 v119, v97
	v_pk_add_f32 v[60:61], v[118:119], v[60:61]
	v_pk_mul_f32 v[118:119], v[120:121], s[30:31] op_sel_hi:[1,0]
	v_mov_b32_e32 v136, v134
	v_pk_fma_f32 v[124:125], v[122:123], s[0:1], v[118:119] op_sel:[0,0,1] op_sel_hi:[1,0,0]
	v_pk_fma_f32 v[118:119], v[122:123], s[0:1], v[118:119] op_sel:[0,0,1] op_sel_hi:[1,0,0] neg_lo:[0,0,1] neg_hi:[0,0,1]
	v_mov_b32_e32 v126, v124
	v_mov_b32_e32 v127, v119
	v_pk_add_f32 v[60:61], v[126:127], v[60:61]
	v_pk_mul_f32 v[126:127], v[58:59], s[28:29] op_sel_hi:[1,0]
	v_mov_b32_e32 v137, v133
	v_pk_fma_f32 v[128:129], v[64:65], s[10:11], v[126:127] op_sel:[0,0,1] op_sel_hi:[1,0,0]
	v_pk_fma_f32 v[126:127], v[64:65], s[10:11], v[126:127] op_sel:[0,0,1] op_sel_hi:[1,0,0] neg_lo:[0,0,1] neg_hi:[0,0,1]
	v_mov_b32_e32 v130, v128
	v_mov_b32_e32 v131, v127
	v_pk_add_f32 v[130:131], v[52:53], v[130:131]
	v_accvgpr_write_b32 a96, v142
	v_pk_add_f32 v[130:131], v[136:137], v[130:131]
	v_pk_mul_f32 v[136:137], v[106:107], s[42:43] op_sel_hi:[1,0]
	v_accvgpr_write_b32 a97, v143
	v_pk_fma_f32 v[138:139], v[108:109], s[12:13], v[136:137] op_sel:[0,0,1] op_sel_hi:[1,0,0]
	v_pk_fma_f32 v[136:137], v[108:109], s[12:13], v[136:137] op_sel:[0,0,1] op_sel_hi:[1,0,0] neg_lo:[0,0,1] neg_hi:[0,0,1]
	v_mov_b32_e32 v140, v138
	v_mov_b32_e32 v141, v137
	v_pk_add_f32 v[130:131], v[140:141], v[130:131]
	v_pk_mul_f32 v[140:141], v[110:111], s[30:31] op_sel_hi:[1,0]
	v_accvgpr_write_b32 a94, v144
	v_pk_fma_f32 v[142:143], v[112:113], s[0:1], v[140:141] op_sel:[0,0,1] op_sel_hi:[1,0,0]
	v_pk_fma_f32 v[140:141], v[112:113], s[0:1], v[140:141] op_sel:[0,0,1] op_sel_hi:[1,0,0] neg_lo:[0,0,1] neg_hi:[0,0,1]
	v_accvgpr_write_b32 a95, v145
	v_mov_b32_e32 v144, v142
	v_mov_b32_e32 v145, v141
	v_pk_add_f32 v[130:131], v[144:145], v[130:131]
	v_pk_mul_f32 v[144:145], v[114:115], s[18:19] op_sel_hi:[1,0]
	v_accvgpr_write_b32 a64, v150
	v_pk_fma_f32 v[146:147], v[116:117], s[8:9], v[144:145] op_sel:[0,0,1] op_sel_hi:[1,0,0]
	v_pk_fma_f32 v[144:145], v[116:117], s[8:9], v[144:145] op_sel:[0,0,1] op_sel_hi:[1,0,0] neg_lo:[0,0,1] neg_hi:[0,0,1]
	v_mov_b32_e32 v148, v146
	v_mov_b32_e32 v149, v145
	v_pk_add_f32 v[130:131], v[148:149], v[130:131]
	v_pk_mul_f32 v[148:149], v[120:121], s[20:21] op_sel_hi:[1,0]
	v_accvgpr_write_b32 a65, v151
	v_pk_fma_f32 v[150:151], v[122:123], s[14:15], v[148:149] op_sel:[0,0,1] op_sel_hi:[1,0,0]
	v_pk_fma_f32 v[148:149], v[122:123], s[14:15], v[148:149] op_sel:[0,0,1] op_sel_hi:[1,0,0] neg_lo:[0,0,1] neg_hi:[0,0,1]
	v_accvgpr_write_b32 a66, v152
	v_accvgpr_write_b32 a67, v153
	v_mov_b32_e32 v152, v150
	v_mov_b32_e32 v153, v149
	v_pk_add_f32 v[130:131], v[152:153], v[130:131]
	ds_write2_b64 v101, v[60:61], v[130:131] offset0:8 offset1:12
	v_pk_mul_f32 v[60:61], v[58:59], s[16:17] op_sel_hi:[1,0]
	v_pk_mul_f32 v[130:131], v[72:73], s[34:35] op_sel_hi:[1,0]
	v_pk_fma_f32 v[182:183], v[64:65], s[12:13], v[60:61] op_sel:[0,0,1] op_sel_hi:[1,0,0]
	v_pk_fma_f32 v[60:61], v[64:65], s[12:13], v[60:61] op_sel:[0,0,1] op_sel_hi:[1,0,0] neg_lo:[0,0,1] neg_hi:[0,0,1]
	v_mov_b32_e32 v184, v182
	v_mov_b32_e32 v185, v61
	v_pk_fma_f32 v[186:187], v[98:99], s[14:15], v[130:131] op_sel:[0,0,1] op_sel_hi:[1,0,0]
	v_pk_fma_f32 v[130:131], v[98:99], s[14:15], v[130:131] op_sel:[0,0,1] op_sel_hi:[1,0,0] neg_lo:[0,0,1] neg_hi:[0,0,1]
	v_pk_mul_f32 v[152:153], v[106:107], s[30:31] op_sel_hi:[1,0]
	v_pk_add_f32 v[184:185], v[52:53], v[184:185]
	v_mov_b32_e32 v188, v186
	v_mov_b32_e32 v189, v131
	v_accvgpr_write_b32 a68, v154
	v_pk_add_f32 v[184:185], v[188:189], v[184:185]
	v_pk_fma_f32 v[188:189], v[108:109], s[0:1], v[152:153] op_sel:[0,0,1] op_sel_hi:[1,0,0]
	v_pk_fma_f32 v[152:153], v[108:109], s[0:1], v[152:153] op_sel:[0,0,1] op_sel_hi:[1,0,0] neg_lo:[0,0,1] neg_hi:[0,0,1]
	v_accvgpr_write_b32 a74, v190
	v_accvgpr_write_b32 a69, v155
	v_pk_mul_f32 v[154:155], v[110:111], s[28:29] op_sel_hi:[1,0]
	v_accvgpr_write_b32 a75, v191
	v_mov_b32_e32 v190, v188
	v_mov_b32_e32 v191, v153
	v_accvgpr_write_b32 a70, v156
	v_pk_add_f32 v[184:185], v[190:191], v[184:185]
	v_pk_fma_f32 v[190:191], v[112:113], s[10:11], v[154:155] op_sel:[0,0,1] op_sel_hi:[1,0,0]
	v_pk_fma_f32 v[154:155], v[112:113], s[10:11], v[154:155] op_sel:[0,0,1] op_sel_hi:[1,0,0] neg_lo:[0,0,1] neg_hi:[0,0,1]
	v_accvgpr_write_b32 a76, v192
	v_accvgpr_write_b32 a71, v157
	v_pk_mul_f32 v[156:157], v[114:115], s[38:39] op_sel_hi:[1,0]
	v_accvgpr_write_b32 a77, v193
	;; [unrolled: 10-line block ×3, first 2 shown]
	v_mov_b32_e32 v206, v192
	v_mov_b32_e32 v207, v157
	v_pk_add_f32 v[184:185], v[206:207], v[184:185]
	v_pk_fma_f32 v[206:207], v[122:123], s[8:9], v[158:159] op_sel:[0,0,1] op_sel_hi:[1,0,0]
	v_pk_fma_f32 v[158:159], v[122:123], s[8:9], v[158:159] op_sel:[0,0,1] op_sel_hi:[1,0,0] neg_lo:[0,0,1] neg_hi:[0,0,1]
	v_accvgpr_write_b32 a80, v208
	v_accvgpr_write_b32 a81, v209
	v_mov_b32_e32 v208, v206
	v_mov_b32_e32 v209, v159
	v_pk_add_f32 v[184:185], v[208:209], v[184:185]
	v_pk_mul_f32 v[208:209], v[58:59], s[20:21] op_sel_hi:[1,0]
	v_accvgpr_write_b32 a92, v210
	v_accvgpr_write_b32 a100, v234
	;; [unrolled: 1-line block ×3, first 2 shown]
	v_pk_fma_f32 v[210:211], v[64:65], s[14:15], v[208:209] op_sel:[0,0,1] op_sel_hi:[1,0,0]
	v_pk_fma_f32 v[208:209], v[64:65], s[14:15], v[208:209] op_sel:[0,0,1] op_sel_hi:[1,0,0] neg_lo:[0,0,1] neg_hi:[0,0,1]
	v_accvgpr_write_b32 a98, v212
	v_accvgpr_write_b32 a101, v235
	v_pk_mul_f32 v[234:235], v[72:73], s[26:27] op_sel_hi:[1,0]
	v_accvgpr_write_b32 a102, v236
	v_accvgpr_write_b32 a99, v213
	v_mov_b32_e32 v212, v210
	v_mov_b32_e32 v213, v209
	v_accvgpr_write_b32 a103, v237
	v_pk_fma_f32 v[236:237], v[98:99], s[10:11], v[234:235] op_sel:[0,0,1] op_sel_hi:[1,0,0]
	v_pk_fma_f32 v[234:235], v[98:99], s[10:11], v[234:235] op_sel:[0,0,1] op_sel_hi:[1,0,0] neg_lo:[0,0,1] neg_hi:[0,0,1]
	v_accvgpr_write_b32 a104, v238
	v_pk_add_f32 v[212:213], v[52:53], v[212:213]
	v_accvgpr_write_b32 a105, v239
	v_mov_b32_e32 v238, v236
	v_mov_b32_e32 v239, v235
	v_pk_add_f32 v[212:213], v[238:239], v[212:213]
	v_pk_mul_f32 v[238:239], v[106:107], s[18:19] op_sel_hi:[1,0]
	v_accvgpr_write_b32 a106, v240
	v_pk_fma_f32 v[0:1], v[108:109], s[8:9], v[238:239] op_sel:[0,0,1] op_sel_hi:[1,0,0]
	v_pk_fma_f32 v[238:239], v[108:109], s[8:9], v[238:239] op_sel:[0,0,1] op_sel_hi:[1,0,0] neg_lo:[0,0,1] neg_hi:[0,0,1]
	v_accvgpr_write_b32 a107, v241
	v_mov_b32_e32 v240, v0
	v_mov_b32_e32 v241, v239
	v_pk_add_f32 v[212:213], v[240:241], v[212:213]
	v_pk_mul_f32 v[240:241], v[110:111], s[38:39] op_sel_hi:[1,0]
	v_mov_b32_e32 v3, v215
	v_pk_fma_f32 v[214:215], v[112:113], s[22:23], v[240:241] op_sel:[0,0,1] op_sel_hi:[1,0,0]
	v_pk_fma_f32 v[240:241], v[112:113], s[22:23], v[240:241] op_sel:[0,0,1] op_sel_hi:[1,0,0] neg_lo:[0,0,1] neg_hi:[0,0,1]
	v_mov_b32_e32 v230, v214
	v_mov_b32_e32 v231, v241
	v_pk_add_f32 v[212:213], v[230:231], v[212:213]
	v_pk_mul_f32 v[230:231], v[114:115], s[30:31] op_sel_hi:[1,0]
	v_mov_b32_e32 v0, v232
	v_pk_fma_f32 v[218:219], v[116:117], s[0:1], v[230:231] op_sel:[0,0,1] op_sel_hi:[1,0,0]
	v_pk_fma_f32 v[230:231], v[116:117], s[0:1], v[230:231] op_sel:[0,0,1] op_sel_hi:[1,0,0] neg_lo:[0,0,1] neg_hi:[0,0,1]
	;; [unrolled: 7-line block ×3, first 2 shown]
	v_mov_b32_e32 v220, v232
	v_mov_b32_e32 v221, v217
	v_pk_add_f32 v[212:213], v[220:221], v[212:213]
	v_pk_mul_f32 v[58:59], v[58:59], s[24:25] op_sel_hi:[1,0]
	ds_write2_b64 v101, v[184:185], v[212:213] offset0:16 offset1:20
	v_pk_mul_f32 v[72:73], v[72:73], s[30:31] op_sel_hi:[1,0]
	v_pk_fma_f32 v[184:185], v[64:65], s[22:23], v[58:59] op_sel:[0,0,1] op_sel_hi:[1,0,0]
	v_pk_fma_f32 v[58:59], v[64:65], s[22:23], v[58:59] op_sel:[0,0,1] op_sel_hi:[1,0,0] neg_lo:[0,0,1] neg_hi:[0,0,1]
	v_mov_b32_e32 v64, v184
	v_mov_b32_e32 v65, v59
	v_pk_fma_f32 v[212:213], v[98:99], s[0:1], v[72:73] op_sel:[0,0,1] op_sel_hi:[1,0,0]
	v_pk_fma_f32 v[72:73], v[98:99], s[0:1], v[72:73] op_sel:[0,0,1] op_sel_hi:[1,0,0] neg_lo:[0,0,1] neg_hi:[0,0,1]
	v_pk_mul_f32 v[106:107], v[106:107], s[20:21] op_sel_hi:[1,0]
	v_pk_add_f32 v[64:65], v[52:53], v[64:65]
	v_mov_b32_e32 v98, v212
	v_mov_b32_e32 v99, v73
	v_pk_add_f32 v[64:65], v[98:99], v[64:65]
	v_pk_fma_f32 v[98:99], v[108:109], s[14:15], v[106:107] op_sel:[0,0,1] op_sel_hi:[1,0,0]
	v_pk_fma_f32 v[106:107], v[108:109], s[14:15], v[106:107] op_sel:[0,0,1] op_sel_hi:[1,0,0] neg_lo:[0,0,1] neg_hi:[0,0,1]
	v_pk_mul_f32 v[110:111], v[110:111], s[36:37] op_sel_hi:[1,0]
	v_mov_b32_e32 v108, v98
	v_mov_b32_e32 v109, v107
	v_pk_add_f32 v[64:65], v[108:109], v[64:65]
	v_pk_fma_f32 v[108:109], v[112:113], s[8:9], v[110:111] op_sel:[0,0,1] op_sel_hi:[1,0,0]
	v_pk_fma_f32 v[110:111], v[112:113], s[8:9], v[110:111] op_sel:[0,0,1] op_sel_hi:[1,0,0] neg_lo:[0,0,1] neg_hi:[0,0,1]
	v_mov_b32_e32 v59, v185
	v_pk_mul_f32 v[114:115], v[114:115], s[16:17] op_sel_hi:[1,0]
	v_mov_b32_e32 v112, v108
	v_mov_b32_e32 v113, v111
	v_pk_add_f32 v[58:59], v[52:53], v[58:59]
	v_mov_b32_e32 v73, v213
	v_pk_add_f32 v[64:65], v[112:113], v[64:65]
	v_pk_fma_f32 v[112:113], v[116:117], s[12:13], v[114:115] op_sel:[0,0,1] op_sel_hi:[1,0,0]
	v_pk_fma_f32 v[114:115], v[116:117], s[12:13], v[114:115] op_sel:[0,0,1] op_sel_hi:[1,0,0] neg_lo:[0,0,1] neg_hi:[0,0,1]
	v_pk_add_f32 v[58:59], v[72:73], v[58:59]
	v_mov_b32_e32 v107, v99
	v_pk_mul_f32 v[120:121], v[120:121], s[26:27] op_sel_hi:[1,0]
	v_mov_b32_e32 v116, v112
	v_mov_b32_e32 v117, v115
	v_pk_add_f32 v[58:59], v[106:107], v[58:59]
	v_mov_b32_e32 v111, v109
	v_pk_add_f32 v[64:65], v[116:117], v[64:65]
	v_pk_fma_f32 v[116:117], v[122:123], s[10:11], v[120:121] op_sel:[0,0,1] op_sel_hi:[1,0,0]
	v_pk_fma_f32 v[120:121], v[122:123], s[10:11], v[120:121] op_sel:[0,0,1] op_sel_hi:[1,0,0] neg_lo:[0,0,1] neg_hi:[0,0,1]
	v_pk_add_f32 v[58:59], v[110:111], v[58:59]
	v_mov_b32_e32 v115, v113
	v_mov_b32_e32 v122, v116
	;; [unrolled: 1-line block ×3, first 2 shown]
	v_pk_add_f32 v[58:59], v[114:115], v[58:59]
	v_mov_b32_e32 v121, v117
	v_pk_add_f32 v[64:65], v[122:123], v[64:65]
	v_pk_add_f32 v[58:59], v[120:121], v[58:59]
	v_mov_b32_e32 v209, v211
	ds_write2_b64 v101, v[64:65], v[58:59] offset0:24 offset1:28
	v_pk_add_f32 v[58:59], v[52:53], v[208:209]
	v_mov_b32_e32 v235, v237
	v_pk_add_f32 v[58:59], v[234:235], v[58:59]
	v_mov_b32_e32 v239, v1
	v_mov_b32_e32 v61, v183
	;; [unrolled: 1-line block ×3, first 2 shown]
	v_pk_add_f32 v[0:1], v[238:239], v[58:59]
	v_pk_add_f32 v[58:59], v[52:53], v[60:61]
	v_mov_b32_e32 v131, v187
	v_pk_add_f32 v[58:59], v[130:131], v[58:59]
	v_mov_b32_e32 v153, v189
	v_mov_b32_e32 v241, v215
	v_pk_add_f32 v[58:59], v[152:153], v[58:59]
	v_mov_b32_e32 v155, v191
	v_pk_add_f32 v[0:1], v[240:241], v[0:1]
	;; [unrolled: 2-line block ×6, first 2 shown]
	v_pk_add_f32 v[58:59], v[158:159], v[58:59]
	v_mov_b32_e32 v127, v129
	v_mov_b32_e32 v27, v25
	ds_write2_b64 v101, v[0:1], v[58:59] offset0:32 offset1:36
	v_pk_add_f32 v[0:1], v[52:53], v[126:127]
	v_mov_b32_e32 v133, v135
	v_pk_add_f32 v[24:25], v[52:53], v[26:27]
	v_mov_b32_e32 v57, v55
	;; [unrolled: 2-line block ×10, first 2 shown]
	v_mov_b32_e32 v215, v3
	v_pk_add_f32 v[0:1], v[148:149], v[0:1]
	v_pk_add_f32 v[24:25], v[118:119], v[24:25]
	v_accvgpr_read_b32 v3, a17
	ds_write2_b64 v101, v[0:1], v[24:25] offset0:40 offset1:44
	v_pk_add_f32 v[0:1], v[52:53], v[2:3]
	v_mov_b32_e32 v7, v5
	v_pk_add_f32 v[0:1], v[6:7], v[0:1]
	v_mov_b32_e32 v11, v9
	;; [unrolled: 2-line block ×4, first 2 shown]
	v_accvgpr_read_b32 v213, a99
	v_accvgpr_read_b32 v99, a59
	;; [unrolled: 1-line block ×23, first 2 shown]
	v_pk_add_f32 v[0:1], v[18:19], v[0:1]
	v_mov_b32_e32 v23, v21
	v_accvgpr_read_b32 v212, a98
	v_accvgpr_read_b32 v98, a58
	;; [unrolled: 1-line block ×13, first 2 shown]
	v_mov_b32_e32 v233, v4
	v_accvgpr_read_b32 v152, a66
	v_accvgpr_read_b32 v190, a74
	;; [unrolled: 1-line block ×11, first 2 shown]
	v_pk_add_f32 v[0:1], v[22:23], v[0:1]
	ds_write_b64 v101, v[0:1] offset:384
.LBB0_9:
	s_or_b64 exec, exec, s[44:45]
	v_add_u32_e32 v3, 0x1000, v100
	s_waitcnt lgkmcnt(0)
	; wave barrier
	s_waitcnt lgkmcnt(0)
	ds_read2_b64 v[4:7], v3 offset0:112 offset1:164
	ds_read2_b64 v[8:11], v100 offset1:52
	v_add_u32_e32 v2, 0x2000, v100
	s_mov_b32 s0, 0x3f5db3d7
	s_waitcnt lgkmcnt(1)
	v_pk_mul_f32 v[0:1], v[102:103], v[4:5]
	s_nop 0
	v_pk_fma_f32 v[12:13], v[160:161], v[4:5], v[0:1] op_sel:[0,0,1] op_sel_hi:[1,1,0]
	v_pk_fma_f32 v[0:1], v[160:161], v[4:5], v[0:1] op_sel:[0,0,1] op_sel_hi:[1,1,0] neg_lo:[0,0,1] neg_hi:[0,0,1]
	v_pk_mul_f32 v[4:5], v[102:103], v[6:7]
	v_mov_b32_e32 v13, v1
	s_waitcnt lgkmcnt(0)
	v_pk_add_f32 v[0:1], v[8:9], v[12:13] neg_lo:[0,1] neg_hi:[0,1]
	v_pk_fma_f32 v[12:13], v[160:161], v[6:7], v[4:5] op_sel:[0,0,1] op_sel_hi:[1,1,0]
	v_pk_fma_f32 v[14:15], v[160:161], v[6:7], v[4:5] op_sel:[0,0,1] op_sel_hi:[1,1,0] neg_lo:[0,0,1] neg_hi:[0,0,1]
	ds_read2_b64 v[4:7], v2 offset0:120 offset1:172
	v_mov_b32_e32 v13, v15
	v_pk_add_f32 v[58:59], v[10:11], v[12:13] neg_lo:[0,1] neg_hi:[0,1]
	ds_read2_b64 v[12:15], v3 offset0:8 offset1:60
	v_pk_fma_f32 v[56:57], v[8:9], 2.0, v[0:1] op_sel_hi:[1,0,1] neg_lo:[0,0,1] neg_hi:[0,0,1]
	s_waitcnt lgkmcnt(1)
	v_pk_mul_f32 v[8:9], v[156:157], v[6:7]
	s_nop 0
	v_pk_fma_f32 v[16:17], v[180:181], v[6:7], v[8:9] op_sel:[0,0,1] op_sel_hi:[1,1,0]
	v_pk_fma_f32 v[18:19], v[180:181], v[6:7], v[8:9] op_sel:[0,0,1] op_sel_hi:[1,1,0] neg_lo:[0,0,1] neg_hi:[0,0,1]
	v_pk_mul_f32 v[6:7], v[154:155], v[4:5]
	v_mov_b32_e32 v17, v19
	v_pk_fma_f32 v[20:21], v[178:179], v[4:5], v[6:7] op_sel:[0,0,1] op_sel_hi:[1,1,0]
	v_pk_fma_f32 v[4:5], v[178:179], v[4:5], v[6:7] op_sel:[0,0,1] op_sel_hi:[1,1,0] neg_lo:[0,0,1] neg_hi:[0,0,1]
	ds_read2_b64 v[6:9], v2 offset0:16 offset1:68
	v_mov_b32_e32 v21, v5
	v_add_u32_e32 v5, 0x1800, v100
	s_waitcnt lgkmcnt(1)
	v_pk_add_f32 v[60:61], v[14:15], v[16:17] neg_lo:[0,1] neg_hi:[0,1]
	ds_read2_b64 v[16:19], v5 offset0:168 offset1:220
	v_pk_add_f32 v[62:63], v[12:13], v[20:21] neg_lo:[0,1] neg_hi:[0,1]
	s_waitcnt lgkmcnt(1)
	v_pk_mul_f32 v[20:21], v[152:153], v[8:9]
	v_add_u32_e32 v4, 0x800, v100
	v_pk_fma_f32 v[52:53], v[176:177], v[8:9], v[20:21] op_sel:[0,0,1] op_sel_hi:[1,1,0]
	v_pk_fma_f32 v[20:21], v[176:177], v[8:9], v[20:21] op_sel:[0,0,1] op_sel_hi:[1,1,0] neg_lo:[0,0,1] neg_hi:[0,0,1]
	v_pk_mul_f32 v[8:9], v[110:111], v[6:7]
	v_mov_b32_e32 v53, v21
	v_pk_fma_f32 v[54:55], v[170:171], v[6:7], v[8:9] op_sel:[0,0,1] op_sel_hi:[1,1,0]
	v_pk_fma_f32 v[22:23], v[170:171], v[6:7], v[8:9] op_sel:[0,0,1] op_sel_hi:[1,1,0] neg_lo:[0,0,1] neg_hi:[0,0,1]
	s_waitcnt lgkmcnt(0)
	v_pk_mul_f32 v[6:7], v[150:151], v[18:19]
	v_mov_b32_e32 v55, v23
	v_pk_fma_f32 v[64:65], v[174:175], v[18:19], v[6:7] op_sel:[0,0,1] op_sel_hi:[1,1,0]
	v_pk_fma_f32 v[66:67], v[174:175], v[18:19], v[6:7] op_sel:[0,0,1] op_sel_hi:[1,1,0] neg_lo:[0,0,1] neg_hi:[0,0,1]
	v_pk_mul_f32 v[6:7], v[114:115], v[16:17]
	v_mov_b32_e32 v65, v67
	v_pk_fma_f32 v[68:69], v[172:173], v[16:17], v[6:7] op_sel:[0,0,1] op_sel_hi:[1,1,0]
	v_pk_fma_f32 v[70:71], v[172:173], v[16:17], v[6:7] op_sel:[0,0,1] op_sel_hi:[1,1,0] neg_lo:[0,0,1] neg_hi:[0,0,1]
	ds_read2_b64 v[6:9], v5 offset0:64 offset1:116
	ds_read2_b64 v[16:19], v4 offset0:160 offset1:212
	v_mov_b32_e32 v69, v71
	s_waitcnt lgkmcnt(1)
	v_pk_mul_f32 v[20:21], v[98:99], v[8:9]
	s_nop 0
	v_pk_fma_f32 v[72:73], v[168:169], v[8:9], v[20:21] op_sel:[0,0,1] op_sel_hi:[1,1,0]
	v_pk_fma_f32 v[8:9], v[168:169], v[8:9], v[20:21] op_sel:[0,0,1] op_sel_hi:[1,1,0] neg_lo:[0,0,1] neg_hi:[0,0,1]
	v_pk_mul_f32 v[20:21], v[96:97], v[6:7]
	s_waitcnt lgkmcnt(0)
	v_pk_add_f32 v[102:103], v[18:19], v[52:53] neg_lo:[0,1] neg_hi:[0,1]
	v_pk_fma_f32 v[96:97], v[166:167], v[6:7], v[20:21] op_sel:[0,0,1] op_sel_hi:[1,1,0]
	v_pk_fma_f32 v[98:99], v[166:167], v[6:7], v[20:21] op_sel:[0,0,1] op_sel_hi:[1,1,0] neg_lo:[0,0,1] neg_hi:[0,0,1]
	v_add_u32_e32 v7, 0x1400, v100
	ds_read2_b64 v[24:27], v7 offset0:88 offset1:140
	v_add_u32_e32 v6, 0x400, v100
	v_pk_add_f32 v[104:105], v[16:17], v[54:55] neg_lo:[0,1] neg_hi:[0,1]
	ds_read2_b64 v[20:23], v4 offset0:56 offset1:108
	v_mov_b32_e32 v73, v9
	s_waitcnt lgkmcnt(1)
	v_pk_mul_f32 v[52:53], v[106:107], v[26:27]
	v_mov_b32_e32 v97, v99
	v_pk_fma_f32 v[66:67], v[164:165], v[26:27], v[52:53] op_sel:[0,0,1] op_sel_hi:[1,1,0]
	v_pk_fma_f32 v[106:107], v[164:165], v[26:27], v[52:53] op_sel:[0,0,1] op_sel_hi:[1,1,0] neg_lo:[0,0,1] neg_hi:[0,0,1]
	v_pk_mul_f32 v[26:27], v[108:109], v[24:25]
	ds_read2_b64 v[52:55], v100 offset0:104 offset1:156
	v_pk_fma_f32 v[108:109], v[162:163], v[24:25], v[26:27] op_sel:[0,0,1] op_sel_hi:[1,1,0]
	v_pk_fma_f32 v[110:111], v[162:163], v[24:25], v[26:27] op_sel:[0,0,1] op_sel_hi:[1,1,0] neg_lo:[0,0,1] neg_hi:[0,0,1]
	ds_read2_b64 v[24:27], v6 offset0:80 offset1:132
	v_mov_b32_e32 v109, v111
	s_waitcnt lgkmcnt(0)
	; wave barrier
	s_waitcnt lgkmcnt(0)
	ds_write2_b64 v100, v[56:57], v[0:1] offset1:52
	v_pk_fma_f32 v[0:1], v[10:11], 2.0, v[58:59] op_sel_hi:[1,0,1] neg_lo:[0,0,1] neg_hi:[0,0,1]
	v_pk_add_f32 v[8:9], v[26:27], v[72:73] neg_lo:[0,1] neg_hi:[0,1]
	v_pk_add_f32 v[72:73], v[52:53], v[108:109] neg_lo:[0,1] neg_hi:[0,1]
	ds_write2_b64 v100, v[0:1], v[58:59] offset0:104 offset1:156
	v_accvgpr_read_b32 v0, a89
	v_mov_b32_e32 v67, v107
	v_pk_fma_f32 v[52:53], v[52:53], 2.0, v[72:73] op_sel_hi:[1,0,1] neg_lo:[0,0,1] neg_hi:[0,0,1]
	v_add_u32_e32 v0, 0x400, v0
	v_pk_add_f32 v[66:67], v[54:55], v[66:67] neg_lo:[0,1] neg_hi:[0,1]
	ds_write2_b64 v0, v[52:53], v[72:73] offset0:80 offset1:132
	v_accvgpr_read_b32 v0, a88
	v_pk_add_f32 v[70:71], v[24:25], v[96:97] neg_lo:[0,1] neg_hi:[0,1]
	v_pk_fma_f32 v[54:55], v[54:55], 2.0, v[66:67] op_sel_hi:[1,0,1] neg_lo:[0,0,1] neg_hi:[0,0,1]
	v_add_u32_e32 v0, 0x800, v0
	v_accvgpr_read_b32 v10, a87
	ds_write2_b64 v0, v[54:55], v[66:67] offset0:56 offset1:108
	v_pk_fma_f32 v[0:1], v[24:25], 2.0, v[70:71] op_sel_hi:[1,0,1] neg_lo:[0,0,1] neg_hi:[0,0,1]
	v_add_u32_e32 v10, 0x800, v10
	ds_write2_b64 v10, v[0:1], v[70:71] offset0:160 offset1:212
	v_accvgpr_read_b32 v10, a86
	v_pk_fma_f32 v[0:1], v[26:27], 2.0, v[8:9] op_sel_hi:[1,0,1] neg_lo:[0,0,1] neg_hi:[0,0,1]
	v_add_u32_e32 v10, 0x1000, v10
	v_pk_add_f32 v[68:69], v[20:21], v[68:69] neg_lo:[0,1] neg_hi:[0,1]
	ds_write2_b64 v10, v[0:1], v[8:9] offset0:8 offset1:60
	v_accvgpr_read_b32 v8, a85
	v_pk_fma_f32 v[0:1], v[20:21], 2.0, v[68:69] op_sel_hi:[1,0,1] neg_lo:[0,0,1] neg_hi:[0,0,1]
	v_add_u32_e32 v8, 0x1000, v8
	v_pk_add_f32 v[64:65], v[22:23], v[64:65] neg_lo:[0,1] neg_hi:[0,1]
	ds_write2_b64 v8, v[0:1], v[68:69] offset0:112 offset1:164
	v_accvgpr_read_b32 v8, a84
	v_pk_fma_f32 v[0:1], v[22:23], 2.0, v[64:65] op_sel_hi:[1,0,1] neg_lo:[0,0,1] neg_hi:[0,0,1]
	v_add_u32_e32 v8, 0x1400, v8
	ds_write2_b64 v8, v[0:1], v[64:65] offset0:88 offset1:140
	v_accvgpr_read_b32 v8, a83
	v_pk_fma_f32 v[0:1], v[16:17], 2.0, v[104:105] op_sel_hi:[1,0,1] neg_lo:[0,0,1] neg_hi:[0,0,1]
	v_add_u32_e32 v8, 0x1800, v8
	ds_write2_b64 v8, v[0:1], v[104:105] offset0:64 offset1:116
	v_pk_fma_f32 v[0:1], v[18:19], 2.0, v[102:103] op_sel_hi:[1,0,1] neg_lo:[0,0,1] neg_hi:[0,0,1]
	v_add_u32_e32 v8, 0x1800, v233
	ds_write2_b64 v8, v[0:1], v[102:103] offset0:168 offset1:220
	v_pk_fma_f32 v[0:1], v[12:13], 2.0, v[62:63] op_sel_hi:[1,0,1] neg_lo:[0,0,1] neg_hi:[0,0,1]
	v_add_u32_e32 v8, 0x2000, v215
	ds_write2_b64 v8, v[0:1], v[62:63] offset0:16 offset1:68
	v_pk_fma_f32 v[0:1], v[14:15], 2.0, v[60:61] op_sel_hi:[1,0,1] neg_lo:[0,0,1] neg_hi:[0,0,1]
	v_add_u32_e32 v8, 0x2000, v232
	ds_write2_b64 v8, v[0:1], v[60:61] offset0:120 offset1:172
	s_waitcnt lgkmcnt(0)
	; wave barrier
	s_waitcnt lgkmcnt(0)
	ds_read2_b64 v[8:11], v4 offset0:160 offset1:212
	ds_read2_b64 v[12:15], v100 offset1:52
	ds_read2_b64 v[16:19], v5 offset0:64 offset1:116
	v_accvgpr_read_b32 v26, a140
	v_accvgpr_read_b32 v27, a141
	s_waitcnt lgkmcnt(2)
	v_pk_mul_f32 v[0:1], v[26:27], v[10:11]
	v_accvgpr_read_b32 v24, a110
	v_pk_fma_f32 v[20:21], v[40:41], v[10:11], v[0:1] op_sel:[0,0,1] op_sel_hi:[1,1,0]
	v_pk_fma_f32 v[0:1], v[40:41], v[10:11], v[0:1] op_sel:[0,0,1] op_sel_hi:[1,1,0] neg_lo:[0,0,1] neg_hi:[0,0,1]
	v_accvgpr_read_b32 v25, a111
	v_mov_b32_e32 v21, v1
	s_waitcnt lgkmcnt(0)
	v_pk_mul_f32 v[0:1], v[210:211], v[18:19]
	v_accvgpr_read_b32 v102, a120
	v_pk_fma_f32 v[22:23], v[42:43], v[18:19], v[0:1] op_sel:[0,0,1] op_sel_hi:[1,1,0]
	v_pk_fma_f32 v[0:1], v[42:43], v[18:19], v[0:1] op_sel:[0,0,1] op_sel_hi:[1,1,0] neg_lo:[0,0,1] neg_hi:[0,0,1]
	v_accvgpr_read_b32 v103, a121
	v_mov_b32_e32 v23, v1
	v_pk_add_f32 v[0:1], v[20:21], v[22:23]
	v_pk_add_f32 v[10:11], v[20:21], v[22:23] neg_lo:[0,1] neg_hi:[0,1]
	v_pk_fma_f32 v[0:1], v[0:1], 0.5, v[14:15] op_sel_hi:[1,0,1] neg_lo:[1,0,0] neg_hi:[1,0,0]
	v_pk_mul_f32 v[10:11], v[10:11], s[0:1] op_sel_hi:[1,0]
	s_nop 0
	v_pk_add_f32 v[52:53], v[0:1], v[10:11] op_sel:[0,1] op_sel_hi:[1,0] neg_lo:[0,1] neg_hi:[0,1]
	v_pk_add_f32 v[0:1], v[0:1], v[10:11] op_sel:[0,1] op_sel_hi:[1,0]
	v_pk_mul_f32 v[10:11], v[24:25], v[8:9]
	s_nop 0
	v_pk_fma_f32 v[18:19], v[36:37], v[8:9], v[10:11] op_sel:[0,0,1] op_sel_hi:[1,1,0]
	v_pk_fma_f32 v[8:9], v[36:37], v[8:9], v[10:11] op_sel:[0,0,1] op_sel_hi:[1,1,0] neg_lo:[0,0,1] neg_hi:[0,0,1]
	s_nop 0
	v_mov_b32_e32 v19, v9
	v_pk_mul_f32 v[8:9], v[208:209], v[16:17]
	s_nop 0
	v_pk_fma_f32 v[10:11], v[38:39], v[16:17], v[8:9] op_sel:[0,0,1] op_sel_hi:[1,1,0]
	v_pk_fma_f32 v[8:9], v[38:39], v[16:17], v[8:9] op_sel:[0,0,1] op_sel_hi:[1,1,0] neg_lo:[0,0,1] neg_hi:[0,0,1]
	s_nop 0
	v_mov_b32_e32 v11, v9
	v_pk_add_f32 v[8:9], v[12:13], v[18:19]
	s_nop 0
	v_pk_add_f32 v[54:55], v[8:9], v[10:11]
	v_pk_add_f32 v[8:9], v[18:19], v[10:11]
	v_pk_add_f32 v[10:11], v[18:19], v[10:11] neg_lo:[0,1] neg_hi:[0,1]
	v_pk_fma_f32 v[8:9], v[8:9], 0.5, v[12:13] op_sel_hi:[1,0,1] neg_lo:[1,0,0] neg_hi:[1,0,0]
	v_pk_mul_f32 v[10:11], v[10:11], s[0:1] op_sel_hi:[1,0]
	v_pk_add_f32 v[12:13], v[14:15], v[20:21]
	v_pk_add_f32 v[56:57], v[8:9], v[10:11] op_sel:[0,1] op_sel_hi:[1,0] neg_lo:[0,1] neg_hi:[0,1]
	v_pk_add_f32 v[58:59], v[8:9], v[10:11] op_sel:[0,1] op_sel_hi:[1,0]
	ds_read2_b64 v[8:11], v3 offset0:8 offset1:60
	v_pk_add_f32 v[60:61], v[12:13], v[22:23]
	ds_read2_b64 v[12:15], v100 offset0:104 offset1:156
	ds_read2_b64 v[16:19], v5 offset0:168 offset1:220
	s_waitcnt lgkmcnt(2)
	v_pk_mul_f32 v[20:21], v[26:27], v[10:11]
	s_nop 0
	v_pk_fma_f32 v[62:63], v[40:41], v[10:11], v[20:21] op_sel:[0,0,1] op_sel_hi:[1,1,0]
	v_pk_fma_f32 v[10:11], v[40:41], v[10:11], v[20:21] op_sel:[0,0,1] op_sel_hi:[1,1,0] neg_lo:[0,0,1] neg_hi:[0,0,1]
	s_nop 0
	v_mov_b32_e32 v63, v11
	s_waitcnt lgkmcnt(0)
	v_pk_mul_f32 v[10:11], v[210:211], v[18:19]
	s_nop 0
	v_pk_fma_f32 v[40:41], v[42:43], v[18:19], v[10:11] op_sel:[0,0,1] op_sel_hi:[1,1,0]
	v_pk_fma_f32 v[10:11], v[42:43], v[18:19], v[10:11] op_sel:[0,0,1] op_sel_hi:[1,1,0] neg_lo:[0,0,1] neg_hi:[0,0,1]
	s_nop 0
	v_mov_b32_e32 v41, v11
	v_pk_add_f32 v[10:11], v[62:63], v[40:41]
	v_pk_add_f32 v[18:19], v[62:63], v[40:41] neg_lo:[0,1] neg_hi:[0,1]
	v_pk_fma_f32 v[10:11], v[10:11], 0.5, v[14:15] op_sel_hi:[1,0,1] neg_lo:[1,0,0] neg_hi:[1,0,0]
	v_pk_mul_f32 v[18:19], v[18:19], s[0:1] op_sel_hi:[1,0]
	s_nop 0
	v_pk_add_f32 v[42:43], v[10:11], v[18:19] op_sel:[0,1] op_sel_hi:[1,0]
	v_pk_add_f32 v[64:65], v[10:11], v[18:19] op_sel:[0,1] op_sel_hi:[1,0] neg_lo:[0,1] neg_hi:[0,1]
	v_pk_mul_f32 v[10:11], v[24:25], v[8:9]
	v_accvgpr_read_b32 v24, a142
	v_pk_fma_f32 v[66:67], v[36:37], v[8:9], v[10:11] op_sel:[0,0,1] op_sel_hi:[1,1,0]
	v_pk_fma_f32 v[8:9], v[36:37], v[8:9], v[10:11] op_sel:[0,0,1] op_sel_hi:[1,1,0] neg_lo:[0,0,1] neg_hi:[0,0,1]
	v_accvgpr_read_b32 v25, a143
	v_mov_b32_e32 v67, v9
	v_pk_mul_f32 v[8:9], v[208:209], v[16:17]
	s_nop 0
	v_pk_fma_f32 v[36:37], v[38:39], v[16:17], v[8:9] op_sel:[0,0,1] op_sel_hi:[1,1,0]
	v_pk_fma_f32 v[8:9], v[38:39], v[16:17], v[8:9] op_sel:[0,0,1] op_sel_hi:[1,1,0] neg_lo:[0,0,1] neg_hi:[0,0,1]
	s_nop 0
	v_mov_b32_e32 v37, v9
	v_pk_add_f32 v[8:9], v[66:67], v[36:37]
	s_nop 0
	v_pk_fma_f32 v[16:17], v[8:9], 0.5, v[12:13] op_sel_hi:[1,0,1] neg_lo:[1,0,0] neg_hi:[1,0,0]
	v_pk_add_f32 v[8:9], v[66:67], v[36:37] neg_lo:[0,1] neg_hi:[0,1]
	v_pk_add_f32 v[12:13], v[12:13], v[66:67]
	v_pk_mul_f32 v[18:19], v[8:9], s[0:1] op_sel_hi:[1,0]
	ds_read2_b64 v[8:11], v7 offset0:88 offset1:140
	v_pk_add_f32 v[38:39], v[16:17], v[18:19] op_sel:[0,1] op_sel_hi:[1,0]
	v_pk_add_f32 v[68:69], v[16:17], v[18:19] op_sel:[0,1] op_sel_hi:[1,0] neg_lo:[0,1] neg_hi:[0,1]
	ds_read2_b64 v[16:19], v4 offset0:56 offset1:108
	ds_read2_b64 v[20:23], v2 offset0:120 offset1:172
	v_pk_add_f32 v[12:13], v[12:13], v[36:37]
	s_waitcnt lgkmcnt(2)
	v_pk_mul_f32 v[24:25], v[24:25], v[10:11]
	s_nop 0
	v_pk_fma_f32 v[70:71], v[48:49], v[10:11], v[24:25] op_sel:[0,0,1] op_sel_hi:[1,1,0]
	v_pk_fma_f32 v[10:11], v[48:49], v[10:11], v[24:25] op_sel:[0,0,1] op_sel_hi:[1,1,0] neg_lo:[0,0,1] neg_hi:[0,0,1]
	s_nop 0
	v_mov_b32_e32 v71, v11
	s_waitcnt lgkmcnt(0)
	v_pk_mul_f32 v[10:11], v[206:207], v[22:23]
	s_nop 0
	v_pk_fma_f32 v[48:49], v[50:51], v[22:23], v[10:11] op_sel:[0,0,1] op_sel_hi:[1,1,0]
	v_pk_fma_f32 v[10:11], v[50:51], v[22:23], v[10:11] op_sel:[0,0,1] op_sel_hi:[1,1,0] neg_lo:[0,0,1] neg_hi:[0,0,1]
	s_nop 0
	v_mov_b32_e32 v49, v11
	v_pk_add_f32 v[10:11], v[70:71], v[48:49]
	v_pk_add_f32 v[22:23], v[70:71], v[48:49] neg_lo:[0,1] neg_hi:[0,1]
	v_pk_fma_f32 v[10:11], v[10:11], 0.5, v[18:19] op_sel_hi:[1,0,1] neg_lo:[1,0,0] neg_hi:[1,0,0]
	v_pk_mul_f32 v[22:23], v[22:23], s[0:1] op_sel_hi:[1,0]
	s_nop 0
	v_pk_add_f32 v[50:51], v[10:11], v[22:23] op_sel:[0,1] op_sel_hi:[1,0]
	v_pk_add_f32 v[72:73], v[10:11], v[22:23] op_sel:[0,1] op_sel_hi:[1,0] neg_lo:[0,1] neg_hi:[0,1]
	v_accvgpr_read_b32 v10, a122
	v_accvgpr_read_b32 v11, a123
	v_pk_mul_f32 v[10:11], v[10:11], v[8:9]
	s_nop 0
	v_pk_fma_f32 v[96:97], v[44:45], v[8:9], v[10:11] op_sel:[0,0,1] op_sel_hi:[1,1,0]
	v_pk_fma_f32 v[8:9], v[44:45], v[8:9], v[10:11] op_sel:[0,0,1] op_sel_hi:[1,1,0] neg_lo:[0,0,1] neg_hi:[0,0,1]
	s_nop 0
	v_mov_b32_e32 v97, v9
	v_pk_mul_f32 v[8:9], v[192:193], v[20:21]
	s_nop 0
	v_pk_fma_f32 v[44:45], v[46:47], v[20:21], v[8:9] op_sel:[0,0,1] op_sel_hi:[1,1,0]
	v_pk_fma_f32 v[8:9], v[46:47], v[20:21], v[8:9] op_sel:[0,0,1] op_sel_hi:[1,1,0] neg_lo:[0,0,1] neg_hi:[0,0,1]
	s_nop 0
	v_mov_b32_e32 v45, v9
	v_pk_add_f32 v[8:9], v[96:97], v[44:45]
	s_nop 0
	v_pk_fma_f32 v[20:21], v[8:9], 0.5, v[16:17] op_sel_hi:[1,0,1] neg_lo:[1,0,0] neg_hi:[1,0,0]
	v_pk_add_f32 v[8:9], v[96:97], v[44:45] neg_lo:[0,1] neg_hi:[0,1]
	s_nop 0
	v_pk_mul_f32 v[22:23], v[8:9], s[0:1] op_sel_hi:[1,0]
	ds_read2_b64 v[8:11], v3 offset0:112 offset1:164
	v_pk_add_f32 v[46:47], v[20:21], v[22:23] op_sel:[0,1] op_sel_hi:[1,0]
	v_pk_add_f32 v[98:99], v[20:21], v[22:23] op_sel:[0,1] op_sel_hi:[1,0] neg_lo:[0,1] neg_hi:[0,1]
	ds_read2_b64 v[20:23], v6 offset0:80 offset1:132
	ds_read2_b64 v[24:27], v2 offset0:16 offset1:68
	s_waitcnt lgkmcnt(0)
	v_pk_mul_f32 v[102:103], v[102:103], v[10:11]
	; wave barrier
	s_nop 0
	v_pk_fma_f32 v[104:105], v[32:33], v[10:11], v[102:103] op_sel:[0,0,1] op_sel_hi:[1,1,0]
	v_pk_fma_f32 v[10:11], v[32:33], v[10:11], v[102:103] op_sel:[0,0,1] op_sel_hi:[1,1,0] neg_lo:[0,0,1] neg_hi:[0,0,1]
	s_nop 0
	v_mov_b32_e32 v105, v11
	v_pk_mul_f32 v[10:11], v[190:191], v[26:27]
	s_nop 0
	v_pk_fma_f32 v[32:33], v[34:35], v[26:27], v[10:11] op_sel:[0,0,1] op_sel_hi:[1,1,0]
	v_pk_fma_f32 v[10:11], v[34:35], v[26:27], v[10:11] op_sel:[0,0,1] op_sel_hi:[1,1,0] neg_lo:[0,0,1] neg_hi:[0,0,1]
	s_nop 0
	v_mov_b32_e32 v33, v11
	v_pk_add_f32 v[10:11], v[104:105], v[32:33]
	v_pk_add_f32 v[26:27], v[104:105], v[32:33] neg_lo:[0,1] neg_hi:[0,1]
	v_pk_fma_f32 v[10:11], v[10:11], 0.5, v[22:23] op_sel_hi:[1,0,1] neg_lo:[1,0,0] neg_hi:[1,0,0]
	v_pk_mul_f32 v[26:27], v[26:27], s[0:1] op_sel_hi:[1,0]
	s_nop 0
	v_pk_add_f32 v[34:35], v[10:11], v[26:27] op_sel:[0,1] op_sel_hi:[1,0]
	v_pk_add_f32 v[10:11], v[10:11], v[26:27] op_sel:[0,1] op_sel_hi:[1,0] neg_lo:[0,1] neg_hi:[0,1]
	v_accvgpr_read_b32 v26, a118
	v_accvgpr_read_b32 v27, a119
	v_pk_mul_f32 v[26:27], v[26:27], v[8:9]
	s_nop 0
	v_pk_fma_f32 v[102:103], v[28:29], v[8:9], v[26:27] op_sel:[0,0,1] op_sel_hi:[1,1,0]
	v_pk_fma_f32 v[8:9], v[28:29], v[8:9], v[26:27] op_sel:[0,0,1] op_sel_hi:[1,1,0] neg_lo:[0,0,1] neg_hi:[0,0,1]
	s_nop 0
	v_mov_b32_e32 v103, v9
	v_pk_mul_f32 v[8:9], v[158:159], v[24:25]
	s_nop 0
	v_pk_fma_f32 v[26:27], v[30:31], v[24:25], v[8:9] op_sel:[0,0,1] op_sel_hi:[1,1,0]
	v_pk_fma_f32 v[8:9], v[30:31], v[24:25], v[8:9] op_sel:[0,0,1] op_sel_hi:[1,1,0] neg_lo:[0,0,1] neg_hi:[0,0,1]
	s_nop 0
	v_mov_b32_e32 v27, v9
	v_pk_add_f32 v[8:9], v[102:103], v[26:27]
	v_pk_add_f32 v[24:25], v[102:103], v[26:27] neg_lo:[0,1] neg_hi:[0,1]
	v_pk_fma_f32 v[8:9], v[8:9], 0.5, v[20:21] op_sel_hi:[1,0,1] neg_lo:[1,0,0] neg_hi:[1,0,0]
	v_pk_mul_f32 v[24:25], v[24:25], s[0:1] op_sel_hi:[1,0]
	s_nop 0
	v_pk_add_f32 v[28:29], v[8:9], v[24:25] op_sel:[0,1] op_sel_hi:[1,0]
	v_pk_add_f32 v[8:9], v[8:9], v[24:25] op_sel:[0,1] op_sel_hi:[1,0] neg_lo:[0,1] neg_hi:[0,1]
	v_mov_b32_e32 v24, v56
	v_mov_b32_e32 v25, v59
	ds_write_b64 v100, v[24:25] offset:832
	v_mov_b32_e32 v59, v57
	v_mov_b32_e32 v25, v1
	;; [unrolled: 1-line block ×3, first 2 shown]
	ds_write_b64 v100, v[58:59] offset:1664
	ds_write2_b64 v100, v[54:55], v[60:61] offset1:52
	ds_write2_b64 v4, v[0:1], v[12:13] offset0:4 offset1:56
	v_pk_add_f32 v[12:13], v[14:15], v[62:63]
	v_mov_b32_e32 v0, v68
	v_mov_b32_e32 v1, v39
	v_pk_add_f32 v[12:13], v[12:13], v[40:41]
	v_mov_b32_e32 v39, v69
	ds_write2_b64 v4, v[12:13], v[0:1] offset0:108 offset1:160
	v_mov_b32_e32 v0, v64
	v_mov_b32_e32 v1, v43
	v_add_u32_e32 v60, 0xc00, v100
	ds_write2_b64 v60, v[0:1], v[38:39] offset0:84 offset1:136
	v_pk_add_f32 v[0:1], v[20:21], v[102:103]
	v_accvgpr_read_b32 v14, a117
	v_mov_b32_e32 v24, v52
	v_mov_b32_e32 v43, v65
	v_pk_add_f32 v[0:1], v[0:1], v[26:27]
	v_mov_b32_e32 v12, v8
	v_mov_b32_e32 v13, v29
	v_add_u32_e32 v8, 0x1000, v14
	ds_write_b64 v100, v[24:25] offset:1248
	ds_write_b64 v100, v[42:43] offset:4576
	ds_write2_b64 v8, v[0:1], v[12:13] offset0:112 offset1:216
	v_pk_add_f32 v[0:1], v[22:23], v[104:105]
	v_accvgpr_read_b32 v12, a115
	v_mov_b32_e32 v29, v9
	v_pk_add_f32 v[0:1], v[0:1], v[32:33]
	v_mov_b32_e32 v8, v10
	v_mov_b32_e32 v9, v35
	v_add_u32_e32 v10, 0x1000, v12
	ds_write2_b64 v10, v[0:1], v[8:9] offset0:112 offset1:216
	v_mov_b32_e32 v35, v11
	v_pk_add_f32 v[0:1], v[16:17], v[96:97]
	v_accvgpr_read_b32 v11, a113
	v_pk_add_f32 v[0:1], v[0:1], v[44:45]
	v_mov_b32_e32 v8, v98
	v_mov_b32_e32 v9, v47
	v_add_u32_e32 v10, 0x1c00, v11
	v_mov_b32_e32 v47, v99
	ds_write2_b64 v10, v[0:1], v[8:9] offset0:40 offset1:144
	ds_write_b64 v11, v[46:47] offset:9152
	v_pk_add_f32 v[0:1], v[18:19], v[70:71]
	v_accvgpr_read_b32 v11, a91
	v_pk_add_f32 v[0:1], v[0:1], v[48:49]
	v_mov_b32_e32 v8, v72
	v_mov_b32_e32 v9, v51
	v_add_u32_e32 v10, 0x1c00, v11
	v_mov_b32_e32 v51, v73
	ds_write_b64 v14, v[28:29] offset:6656
	ds_write_b64 v12, v[34:35] offset:6656
	ds_write2_b64 v10, v[0:1], v[8:9] offset0:40 offset1:144
	ds_write_b64 v11, v[50:51] offset:9152
	s_waitcnt lgkmcnt(0)
	; wave barrier
	s_waitcnt lgkmcnt(0)
	ds_read2_b64 v[8:11], v5 offset0:64 offset1:116
	ds_read2_b64 v[12:15], v6 offset0:80 offset1:132
	v_add_u32_e32 v1, 0x1c00, v100
	v_mov_b32_e32 v0, s2
	s_waitcnt lgkmcnt(1)
	v_pk_mul_f32 v[16:17], v[204:205], v[10:11]
	s_nop 0
	v_pk_fma_f32 v[18:19], v[252:253], v[10:11], v[16:17] op_sel:[0,0,1] op_sel_hi:[1,1,0]
	v_pk_fma_f32 v[10:11], v[252:253], v[10:11], v[16:17] op_sel:[0,0,1] op_sel_hi:[1,1,0] neg_lo:[0,0,1] neg_hi:[0,0,1]
	s_nop 0
	v_mov_b32_e32 v19, v11
	s_waitcnt lgkmcnt(0)
	v_pk_add_f32 v[24:25], v[14:15], v[18:19] neg_lo:[0,1] neg_hi:[0,1]
	ds_read2_b64 v[16:19], v3 offset0:112 offset1:164
	v_pk_mul_f32 v[10:11], v[202:203], v[8:9]
	v_pk_fma_f32 v[46:47], v[14:15], 2.0, v[24:25] op_sel_hi:[1,0,1] neg_lo:[0,0,1] neg_hi:[0,0,1]
	v_pk_fma_f32 v[20:21], v[248:249], v[8:9], v[10:11] op_sel:[0,0,1] op_sel_hi:[1,1,0]
	v_pk_fma_f32 v[8:9], v[248:249], v[8:9], v[10:11] op_sel:[0,0,1] op_sel_hi:[1,1,0] neg_lo:[0,0,1] neg_hi:[0,0,1]
	s_nop 0
	v_mov_b32_e32 v21, v9
	ds_read2_b64 v[8:11], v100 offset1:52
	v_pk_add_f32 v[26:27], v[12:13], v[20:21] neg_lo:[0,1] neg_hi:[0,1]
	s_waitcnt lgkmcnt(1)
	v_pk_mul_f32 v[20:21], v[194:195], v[16:17]
	v_pk_fma_f32 v[44:45], v[12:13], 2.0, v[26:27] op_sel_hi:[1,0,1] neg_lo:[0,0,1] neg_hi:[0,0,1]
	v_pk_fma_f32 v[22:23], v[244:245], v[16:17], v[20:21] op_sel:[0,0,1] op_sel_hi:[1,1,0]
	v_pk_fma_f32 v[16:17], v[244:245], v[16:17], v[20:21] op_sel:[0,0,1] op_sel_hi:[1,1,0] neg_lo:[0,0,1] neg_hi:[0,0,1]
	s_nop 0
	v_mov_b32_e32 v23, v17
	s_waitcnt lgkmcnt(0)
	v_pk_add_f32 v[28:29], v[8:9], v[22:23] neg_lo:[0,1] neg_hi:[0,1]
	s_nop 0
	v_pk_fma_f32 v[30:31], v[8:9], 2.0, v[28:29] op_sel_hi:[1,0,1] neg_lo:[0,0,1] neg_hi:[0,0,1]
	v_pk_mul_f32 v[8:9], v[196:197], v[18:19]
	s_nop 0
	v_pk_fma_f32 v[20:21], v[246:247], v[18:19], v[8:9] op_sel:[0,0,1] op_sel_hi:[1,1,0]
	v_pk_fma_f32 v[8:9], v[246:247], v[18:19], v[8:9] op_sel:[0,0,1] op_sel_hi:[1,1,0] neg_lo:[0,0,1] neg_hi:[0,0,1]
	ds_read2_b64 v[16:19], v7 offset0:88 offset1:140
	v_mov_b32_e32 v21, v9
	v_pk_add_f32 v[32:33], v[10:11], v[20:21] neg_lo:[0,1] neg_hi:[0,1]
	s_waitcnt lgkmcnt(0)
	v_pk_mul_f32 v[20:21], v[198:199], v[16:17]
	v_pk_fma_f32 v[34:35], v[10:11], 2.0, v[32:33] op_sel_hi:[1,0,1] neg_lo:[0,0,1] neg_hi:[0,0,1]
	ds_read2_b64 v[8:11], v100 offset0:104 offset1:156
	v_pk_fma_f32 v[22:23], v[250:251], v[16:17], v[20:21] op_sel:[0,0,1] op_sel_hi:[1,1,0]
	v_pk_fma_f32 v[16:17], v[250:251], v[16:17], v[20:21] op_sel:[0,0,1] op_sel_hi:[1,1,0] neg_lo:[0,0,1] neg_hi:[0,0,1]
	s_nop 0
	v_mov_b32_e32 v23, v17
	s_waitcnt lgkmcnt(0)
	v_pk_add_f32 v[36:37], v[8:9], v[22:23] neg_lo:[0,1] neg_hi:[0,1]
	s_nop 0
	v_pk_fma_f32 v[38:39], v[8:9], 2.0, v[36:37] op_sel_hi:[1,0,1] neg_lo:[0,0,1] neg_hi:[0,0,1]
	v_pk_mul_f32 v[8:9], v[200:201], v[18:19]
	s_nop 0
	v_pk_fma_f32 v[16:17], v[254:255], v[18:19], v[8:9] op_sel:[0,0,1] op_sel_hi:[1,1,0]
	v_pk_fma_f32 v[8:9], v[254:255], v[18:19], v[8:9] op_sel:[0,0,1] op_sel_hi:[1,1,0] neg_lo:[0,0,1] neg_hi:[0,0,1]
	s_nop 0
	v_mov_b32_e32 v17, v9
	v_pk_add_f32 v[40:41], v[10:11], v[16:17] neg_lo:[0,1] neg_hi:[0,1]
	ds_read2_b64 v[16:19], v2 offset0:120 offset1:172
	v_pk_fma_f32 v[42:43], v[10:11], 2.0, v[40:41] op_sel_hi:[1,0,1] neg_lo:[0,0,1] neg_hi:[0,0,1]
	ds_read2_b64 v[8:11], v3 offset0:8 offset1:60
	s_waitcnt lgkmcnt(1)
	v_pk_mul_f32 v[12:13], v[204:205], v[18:19]
	s_nop 0
	v_pk_fma_f32 v[14:15], v[252:253], v[18:19], v[12:13] op_sel:[0,0,1] op_sel_hi:[1,1,0]
	v_pk_fma_f32 v[12:13], v[252:253], v[18:19], v[12:13] op_sel:[0,0,1] op_sel_hi:[1,1,0] neg_lo:[0,0,1] neg_hi:[0,0,1]
	v_pk_mul_f32 v[18:19], v[202:203], v[16:17]
	v_mov_b32_e32 v15, v13
	s_waitcnt lgkmcnt(0)
	v_pk_add_f32 v[48:49], v[10:11], v[14:15] neg_lo:[0,1] neg_hi:[0,1]
	ds_read2_b64 v[12:15], v2 offset0:16 offset1:68
	v_pk_fma_f32 v[20:21], v[248:249], v[16:17], v[18:19] op_sel:[0,0,1] op_sel_hi:[1,1,0]
	v_pk_fma_f32 v[16:17], v[248:249], v[16:17], v[18:19] op_sel:[0,0,1] op_sel_hi:[1,1,0] neg_lo:[0,0,1] neg_hi:[0,0,1]
	s_nop 0
	v_mov_b32_e32 v21, v17
	ds_read2_b64 v[16:19], v4 offset0:160 offset1:212
	v_pk_add_f32 v[50:51], v[8:9], v[20:21] neg_lo:[0,1] neg_hi:[0,1]
	s_waitcnt lgkmcnt(1)
	v_pk_mul_f32 v[20:21], v[200:201], v[14:15]
	v_pk_fma_f32 v[8:9], v[8:9], 2.0, v[50:51] op_sel_hi:[1,0,1] neg_lo:[0,0,1] neg_hi:[0,0,1]
	v_pk_fma_f32 v[22:23], v[254:255], v[14:15], v[20:21] op_sel:[0,0,1] op_sel_hi:[1,1,0]
	v_pk_fma_f32 v[14:15], v[254:255], v[14:15], v[20:21] op_sel:[0,0,1] op_sel_hi:[1,1,0] neg_lo:[0,0,1] neg_hi:[0,0,1]
	s_nop 0
	v_mov_b32_e32 v23, v15
	s_waitcnt lgkmcnt(0)
	v_pk_add_f32 v[52:53], v[18:19], v[22:23] neg_lo:[0,1] neg_hi:[0,1]
	ds_read2_b64 v[20:23], v5 offset0:168 offset1:220
	v_pk_mul_f32 v[14:15], v[198:199], v[12:13]
	s_waitcnt lgkmcnt(0)
	v_pk_mul_f32 v[56:57], v[196:197], v[22:23]
	v_pk_fma_f32 v[54:55], v[250:251], v[12:13], v[14:15] op_sel:[0,0,1] op_sel_hi:[1,1,0]
	v_pk_fma_f32 v[12:13], v[250:251], v[12:13], v[14:15] op_sel:[0,0,1] op_sel_hi:[1,1,0] neg_lo:[0,0,1] neg_hi:[0,0,1]
	v_pk_fma_f32 v[58:59], v[246:247], v[22:23], v[56:57] op_sel:[0,0,1] op_sel_hi:[1,1,0]
	v_mov_b32_e32 v55, v13
	ds_read2_b64 v[12:15], v4 offset0:56 offset1:108
	v_pk_fma_f32 v[22:23], v[246:247], v[22:23], v[56:57] op_sel:[0,0,1] op_sel_hi:[1,1,0] neg_lo:[0,0,1] neg_hi:[0,0,1]
	v_pk_mul_f32 v[56:57], v[194:195], v[20:21]
	v_mov_b32_e32 v59, v23
	v_pk_add_f32 v[54:55], v[16:17], v[54:55] neg_lo:[0,1] neg_hi:[0,1]
	s_waitcnt lgkmcnt(0)
	v_pk_add_f32 v[22:23], v[14:15], v[58:59] neg_lo:[0,1] neg_hi:[0,1]
	v_pk_fma_f32 v[58:59], v[244:245], v[20:21], v[56:57] op_sel:[0,0,1] op_sel_hi:[1,1,0]
	v_pk_fma_f32 v[20:21], v[244:245], v[20:21], v[56:57] op_sel:[0,0,1] op_sel_hi:[1,1,0] neg_lo:[0,0,1] neg_hi:[0,0,1]
	s_nop 0
	v_mov_b32_e32 v59, v21
	v_pk_add_f32 v[20:21], v[12:13], v[58:59] neg_lo:[0,1] neg_hi:[0,1]
	; wave barrier
	s_nop 0
	v_pk_fma_f32 v[12:13], v[12:13], 2.0, v[20:21] op_sel_hi:[1,0,1] neg_lo:[0,0,1] neg_hi:[0,0,1]
	ds_write_b64 v100, v[28:29] offset:2496
	ds_write2_b64 v100, v[30:31], v[34:35] offset1:52
	ds_write2_b64 v4, v[32:33], v[36:37] offset0:108 offset1:160
	ds_write2_b64 v100, v[38:39], v[42:43] offset0:104 offset1:156
	ds_write2_b64 v60, v[40:41], v[26:27] offset0:84 offset1:136
	ds_write2_b64 v6, v[44:45], v[46:47] offset0:80 offset1:132
	ds_write2_b64 v3, v[24:25], v[12:13] offset0:60 offset1:112
	v_pk_fma_f32 v[12:13], v[14:15], 2.0, v[22:23] op_sel_hi:[1,0,1] neg_lo:[0,0,1] neg_hi:[0,0,1]
	v_pk_fma_f32 v[14:15], v[16:17], 2.0, v[54:55] op_sel_hi:[1,0,1] neg_lo:[0,0,1] neg_hi:[0,0,1]
	ds_write2_b64 v3, v[12:13], v[14:15] offset0:164 offset1:216
	v_pk_fma_f32 v[12:13], v[18:19], 2.0, v[52:53] op_sel_hi:[1,0,1] neg_lo:[0,0,1] neg_hi:[0,0,1]
	ds_write2_b64 v1, v[22:23], v[54:55] offset0:92 offset1:144
	ds_write2_b64 v5, v[12:13], v[8:9] offset0:12 offset1:64
	;; [unrolled: 1-line block ×3, first 2 shown]
	v_pk_fma_f32 v[8:9], v[10:11], 2.0, v[48:49] op_sel_hi:[1,0,1] neg_lo:[0,0,1] neg_hi:[0,0,1]
	ds_write2_b64 v5, v[8:9], v[20:21] offset0:116 offset1:168
	ds_write_b64 v100, v[48:49] offset:9568
	s_waitcnt lgkmcnt(0)
	; wave barrier
	s_waitcnt lgkmcnt(0)
	ds_read2_b64 v[8:11], v3 offset0:112 offset1:164
	ds_read2_b64 v[12:15], v100 offset1:52
	v_accvgpr_read_b32 v34, a108
	v_accvgpr_read_b32 v35, a109
	;; [unrolled: 1-line block ×3, first 2 shown]
	s_waitcnt lgkmcnt(1)
	v_pk_mul_f32 v[18:19], v[228:229], v[8:9]
	v_mad_u64_u32 v[16:17], s[0:1], s6, v58, 0
	v_pk_fma_f32 v[20:21], v[94:95], v[8:9], v[18:19] op_sel:[0,0,1] op_sel_hi:[1,1,0]
	v_pk_fma_f32 v[8:9], v[94:95], v[8:9], v[18:19] op_sel:[0,0,1] op_sel_hi:[1,1,0] neg_lo:[0,0,1] neg_hi:[0,0,1]
	v_mov_b32_e32 v1, s3
	v_mov_b32_e32 v21, v9
	s_waitcnt lgkmcnt(0)
	v_pk_add_f32 v[18:19], v[12:13], v[20:21] neg_lo:[0,1] neg_hi:[0,1]
	v_pk_mul_f32 v[8:9], v[226:227], v[10:11]
	v_pk_fma_f32 v[20:21], v[12:13], 2.0, v[18:19] op_sel_hi:[1,0,1] neg_lo:[0,0,1] neg_hi:[0,0,1]
	v_pk_fma_f32 v[12:13], v[242:243], v[10:11], v[8:9] op_sel:[0,0,1] op_sel_hi:[1,1,0]
	v_pk_fma_f32 v[22:23], v[242:243], v[10:11], v[8:9] op_sel:[0,0,1] op_sel_hi:[1,1,0] neg_lo:[0,0,1] neg_hi:[0,0,1]
	ds_read2_b64 v[8:11], v7 offset0:88 offset1:140
	v_mov_b32_e32 v13, v23
	v_pk_add_f32 v[22:23], v[14:15], v[12:13] neg_lo:[0,1] neg_hi:[0,1]
	s_waitcnt lgkmcnt(0)
	v_pk_mul_f32 v[26:27], v[224:225], v[8:9]
	v_pk_fma_f32 v[24:25], v[14:15], 2.0, v[22:23] op_sel_hi:[1,0,1] neg_lo:[0,0,1] neg_hi:[0,0,1]
	ds_read2_b64 v[12:15], v100 offset0:104 offset1:156
	v_pk_fma_f32 v[28:29], v[90:91], v[8:9], v[26:27] op_sel:[0,0,1] op_sel_hi:[1,1,0]
	v_pk_fma_f32 v[8:9], v[90:91], v[8:9], v[26:27] op_sel:[0,0,1] op_sel_hi:[1,1,0] neg_lo:[0,0,1] neg_hi:[0,0,1]
	s_nop 0
	v_mov_b32_e32 v29, v9
	s_waitcnt lgkmcnt(0)
	v_pk_add_f32 v[26:27], v[12:13], v[28:29] neg_lo:[0,1] neg_hi:[0,1]
	v_pk_mul_f32 v[8:9], v[222:223], v[10:11]
	v_pk_fma_f32 v[28:29], v[12:13], 2.0, v[26:27] op_sel_hi:[1,0,1] neg_lo:[0,0,1] neg_hi:[0,0,1]
	v_pk_fma_f32 v[12:13], v[92:93], v[10:11], v[8:9] op_sel:[0,0,1] op_sel_hi:[1,1,0]
	v_pk_fma_f32 v[30:31], v[92:93], v[10:11], v[8:9] op_sel:[0,0,1] op_sel_hi:[1,1,0] neg_lo:[0,0,1] neg_hi:[0,0,1]
	ds_read2_b64 v[8:11], v5 offset0:64 offset1:116
	v_mov_b32_e32 v13, v31
	v_pk_add_f32 v[30:31], v[14:15], v[12:13] neg_lo:[0,1] neg_hi:[0,1]
	s_waitcnt lgkmcnt(0)
	v_pk_mul_f32 v[34:35], v[34:35], v[8:9]
	v_pk_fma_f32 v[32:33], v[14:15], 2.0, v[30:31] op_sel_hi:[1,0,1] neg_lo:[0,0,1] neg_hi:[0,0,1]
	ds_read2_b64 v[12:15], v6 offset0:80 offset1:132
	v_pk_fma_f32 v[36:37], v[86:87], v[8:9], v[34:35] op_sel:[0,0,1] op_sel_hi:[1,1,0]
	v_pk_fma_f32 v[8:9], v[86:87], v[8:9], v[34:35] op_sel:[0,0,1] op_sel_hi:[1,1,0] neg_lo:[0,0,1] neg_hi:[0,0,1]
	s_nop 0
	;; [unrolled: 17-line block ×3, first 2 shown]
	v_mov_b32_e32 v45, v9
	s_waitcnt lgkmcnt(0)
	v_pk_add_f32 v[42:43], v[12:13], v[44:45] neg_lo:[0,1] neg_hi:[0,1]
	v_pk_mul_f32 v[8:9], v[236:237], v[10:11]
	v_pk_fma_f32 v[44:45], v[12:13], 2.0, v[42:43] op_sel_hi:[1,0,1] neg_lo:[0,0,1] neg_hi:[0,0,1]
	v_pk_fma_f32 v[12:13], v[84:85], v[10:11], v[8:9] op_sel:[0,0,1] op_sel_hi:[1,1,0]
	v_pk_fma_f32 v[46:47], v[84:85], v[10:11], v[8:9] op_sel:[0,0,1] op_sel_hi:[1,1,0] neg_lo:[0,0,1] neg_hi:[0,0,1]
	ds_read2_b64 v[8:11], v2 offset0:16 offset1:68
	v_mov_b32_e32 v13, v47
	v_pk_add_f32 v[46:47], v[14:15], v[12:13] neg_lo:[0,1] neg_hi:[0,1]
	s_waitcnt lgkmcnt(0)
	v_pk_mul_f32 v[50:51], v[234:235], v[8:9]
	v_pk_fma_f32 v[48:49], v[14:15], 2.0, v[46:47] op_sel_hi:[1,0,1] neg_lo:[0,0,1] neg_hi:[0,0,1]
	ds_read2_b64 v[12:15], v4 offset0:160 offset1:212
	v_pk_fma_f32 v[52:53], v[78:79], v[8:9], v[50:51] op_sel:[0,0,1] op_sel_hi:[1,1,0]
	v_pk_fma_f32 v[8:9], v[78:79], v[8:9], v[50:51] op_sel:[0,0,1] op_sel_hi:[1,1,0] neg_lo:[0,0,1] neg_hi:[0,0,1]
	ds_write2_b64 v100, v[20:21], v[24:25] offset1:52
	v_mov_b32_e32 v53, v9
	s_waitcnt lgkmcnt(1)
	v_pk_add_f32 v[50:51], v[12:13], v[52:53] neg_lo:[0,1] neg_hi:[0,1]
	v_pk_mul_f32 v[8:9], v[212:213], v[10:11]
	v_pk_fma_f32 v[52:53], v[12:13], 2.0, v[50:51] op_sel_hi:[1,0,1] neg_lo:[0,0,1] neg_hi:[0,0,1]
	v_pk_fma_f32 v[12:13], v[80:81], v[10:11], v[8:9] op_sel:[0,0,1] op_sel_hi:[1,1,0]
	v_pk_fma_f32 v[8:9], v[80:81], v[10:11], v[8:9] op_sel:[0,0,1] op_sel_hi:[1,1,0] neg_lo:[0,0,1] neg_hi:[0,0,1]
	s_nop 0
	v_mov_b32_e32 v13, v9
	ds_read2_b64 v[8:11], v2 offset0:120 offset1:172
	v_pk_add_f32 v[54:55], v[14:15], v[12:13] neg_lo:[0,1] neg_hi:[0,1]
	ds_write2_b64 v100, v[28:29], v[32:33] offset0:104 offset1:156
	ds_write2_b64 v6, v[36:37], v[40:41] offset0:80 offset1:132
	;; [unrolled: 1-line block ×3, first 2 shown]
	v_pk_fma_f32 v[56:57], v[14:15], 2.0, v[54:55] op_sel_hi:[1,0,1] neg_lo:[0,0,1] neg_hi:[0,0,1]
	ds_read2_b64 v[12:15], v3 offset0:8 offset1:60
	s_waitcnt lgkmcnt(4)
	v_pk_mul_f32 v[20:21], v[144:145], v[8:9]
	s_nop 0
	v_pk_fma_f32 v[24:25], v[76:77], v[8:9], v[20:21] op_sel:[0,0,1] op_sel_hi:[1,1,0]
	v_pk_fma_f32 v[8:9], v[76:77], v[8:9], v[20:21] op_sel:[0,0,1] op_sel_hi:[1,1,0] neg_lo:[0,0,1] neg_hi:[0,0,1]
	v_pk_mul_f32 v[20:21], v[142:143], v[10:11]
	v_mov_b32_e32 v25, v9
	s_waitcnt lgkmcnt(0)
	v_pk_add_f32 v[8:9], v[12:13], v[24:25] neg_lo:[0,1] neg_hi:[0,1]
	v_pk_fma_f32 v[24:25], v[74:75], v[10:11], v[20:21] op_sel:[0,0,1] op_sel_hi:[1,1,0]
	v_pk_fma_f32 v[10:11], v[74:75], v[10:11], v[20:21] op_sel:[0,0,1] op_sel_hi:[1,1,0] neg_lo:[0,0,1] neg_hi:[0,0,1]
	v_pk_fma_f32 v[12:13], v[12:13], 2.0, v[8:9] op_sel_hi:[1,0,1] neg_lo:[0,0,1] neg_hi:[0,0,1]
	v_mov_b32_e32 v25, v11
	v_pk_add_f32 v[10:11], v[14:15], v[24:25] neg_lo:[0,1] neg_hi:[0,1]
	s_nop 0
	v_pk_fma_f32 v[14:15], v[14:15], 2.0, v[10:11] op_sel_hi:[1,0,1] neg_lo:[0,0,1] neg_hi:[0,0,1]
	ds_write2_b64 v3, v[18:19], v[22:23] offset0:112 offset1:164
	ds_write2_b64 v7, v[26:27], v[30:31] offset0:88 offset1:140
	;; [unrolled: 1-line block ×8, first 2 shown]
	s_waitcnt lgkmcnt(0)
	; wave barrier
	s_waitcnt lgkmcnt(0)
	ds_read2_b64 v[8:11], v100 offset1:52
	v_mov_b32_e32 v12, v17
	v_accvgpr_read_b32 v14, a30
	v_mad_u64_u32 v[12:13], s[0:1], s7, v58, v[12:13]
	v_accvgpr_read_b32 v15, a31
	v_mov_b32_e32 v17, v12
	s_waitcnt lgkmcnt(0)
	v_mul_f32_e32 v12, v15, v9
	v_fmac_f32_e32 v12, v14, v8
	v_mul_f32_e32 v8, v15, v8
	s_mov_b32 s0, 0x1a41a41a
	v_fma_f32 v8, v14, v9, -v8
	s_mov_b32 s1, 0x3f4a41a4
	v_cvt_f64_f32_e32 v[8:9], v8
	v_cvt_f64_f32_e32 v[12:13], v12
	v_mul_f64 v[8:9], v[8:9], s[0:1]
	v_mul_f64 v[12:13], v[12:13], s[0:1]
	v_cvt_f32_f64_e32 v19, v[8:9]
	v_mad_u64_u32 v[8:9], s[2:3], s4, v214, 0
	v_cvt_f32_f64_e32 v18, v[12:13]
	v_mov_b32_e32 v12, v9
	v_mad_u64_u32 v[20:21], s[2:3], s5, v214, v[12:13]
	ds_read2_b64 v[12:15], v3 offset0:112 offset1:164
	v_mov_b32_e32 v9, v20
	v_lshl_add_u64 v[0:1], v[16:17], 3, v[0:1]
	v_lshl_add_u64 v[8:9], v[8:9], 3, v[0:1]
	global_store_dwordx2 v[8:9], v[18:19], off
	v_accvgpr_read_b32 v18, a26
	v_accvgpr_read_b32 v19, a27
	s_waitcnt lgkmcnt(0)
	v_mul_f32_e32 v16, v19, v13
	v_fmac_f32_e32 v16, v18, v12
	v_mul_f32_e32 v12, v19, v12
	v_fma_f32 v12, v18, v13, -v12
	v_mov_b32_e32 v20, 0x1380
	v_cvt_f64_f32_e32 v[16:17], v16
	v_cvt_f64_f32_e32 v[12:13], v12
	v_mad_u64_u32 v[8:9], s[2:3], s4, v20, v[8:9]
	v_mul_f64 v[16:17], v[16:17], s[0:1]
	v_mul_f64 v[12:13], v[12:13], s[0:1]
	s_mul_i32 s2, s5, 0x1380
	v_cvt_f32_f64_e32 v16, v[16:17]
	v_cvt_f32_f64_e32 v17, v[12:13]
	v_add_u32_e32 v9, s2, v9
	global_store_dwordx2 v[8:9], v[16:17], off
	v_accvgpr_read_b32 v16, a24
	v_accvgpr_read_b32 v17, a25
	v_mul_f32_e32 v12, v17, v11
	v_fmac_f32_e32 v12, v16, v10
	v_mul_f32_e32 v10, v17, v10
	v_fma_f32 v10, v16, v11, -v10
	v_cvt_f64_f32_e32 v[12:13], v12
	v_cvt_f64_f32_e32 v[10:11], v10
	v_mul_f64 v[12:13], v[12:13], s[0:1]
	v_mul_f64 v[10:11], v[10:11], s[0:1]
	v_cvt_f32_f64_e32 v12, v[12:13]
	v_cvt_f32_f64_e32 v13, v[10:11]
	v_accvgpr_read_b32 v10, a22
	v_mov_b32_e32 v21, 0xffffee20
	v_accvgpr_read_b32 v11, a23
	v_mad_u64_u32 v[16:17], s[6:7], s4, v21, v[8:9]
	v_mul_f32_e32 v8, v11, v15
	s_mul_i32 s3, s5, 0xffffee20
	v_fmac_f32_e32 v8, v10, v14
	s_sub_i32 s3, s3, s4
	v_cvt_f64_f32_e32 v[8:9], v8
	v_add_u32_e32 v17, s3, v17
	v_mul_f64 v[8:9], v[8:9], s[0:1]
	global_store_dwordx2 v[16:17], v[12:13], off
	v_cvt_f32_f64_e32 v12, v[8:9]
	v_mul_f32_e32 v8, v11, v14
	v_fma_f32 v8, v10, v15, -v8
	v_cvt_f64_f32_e32 v[8:9], v8
	v_mul_f64 v[8:9], v[8:9], s[0:1]
	v_cvt_f32_f64_e32 v13, v[8:9]
	ds_read2_b64 v[8:11], v100 offset0:104 offset1:156
	v_mad_u64_u32 v[16:17], s[6:7], s4, v20, v[16:17]
	v_accvgpr_read_b32 v14, a18
	v_add_u32_e32 v17, s2, v17
	v_accvgpr_read_b32 v15, a19
	global_store_dwordx2 v[16:17], v[12:13], off
	s_waitcnt lgkmcnt(0)
	v_mul_f32_e32 v12, v15, v9
	v_fmac_f32_e32 v12, v14, v8
	v_cvt_f64_f32_e32 v[12:13], v12
	v_mul_f32_e32 v8, v15, v8
	v_mul_f64 v[12:13], v[12:13], s[0:1]
	v_fma_f32 v8, v14, v9, -v8
	v_cvt_f32_f64_e32 v18, v[12:13]
	v_cvt_f64_f32_e32 v[8:9], v8
	ds_read2_b64 v[12:15], v7 offset0:88 offset1:140
	v_mul_f64 v[8:9], v[8:9], s[0:1]
	v_cvt_f32_f64_e32 v19, v[8:9]
	v_mad_u64_u32 v[8:9], s[6:7], s4, v21, v[16:17]
	v_add_u32_e32 v9, s3, v9
	global_store_dwordx2 v[8:9], v[18:19], off
	v_accvgpr_read_b32 v19, a13
	v_accvgpr_read_b32 v18, a12
	s_waitcnt lgkmcnt(0)
	v_mul_f32_e32 v7, v19, v13
	v_fmac_f32_e32 v7, v18, v12
	v_cvt_f64_f32_e32 v[16:17], v7
	v_mul_f32_e32 v7, v19, v12
	v_fma_f32 v7, v18, v13, -v7
	v_cvt_f64_f32_e32 v[12:13], v7
	v_mul_f64 v[16:17], v[16:17], s[0:1]
	v_mul_f64 v[12:13], v[12:13], s[0:1]
	v_mad_u64_u32 v[8:9], s[6:7], s4, v20, v[8:9]
	v_cvt_f32_f64_e32 v16, v[16:17]
	v_cvt_f32_f64_e32 v17, v[12:13]
	v_add_u32_e32 v9, s2, v9
	global_store_dwordx2 v[8:9], v[16:17], off
	v_accvgpr_read_b32 v17, a11
	v_accvgpr_read_b32 v16, a10
	v_mul_f32_e32 v7, v17, v11
	v_fmac_f32_e32 v7, v16, v10
	v_cvt_f64_f32_e32 v[12:13], v7
	v_mul_f32_e32 v7, v17, v10
	v_fma_f32 v7, v16, v11, -v7
	v_accvgpr_read_b32 v17, a15
	v_cvt_f64_f32_e32 v[10:11], v7
	v_accvgpr_read_b32 v16, a14
	v_mul_f32_e32 v7, v17, v15
	v_mul_f64 v[12:13], v[12:13], s[0:1]
	v_mul_f64 v[10:11], v[10:11], s[0:1]
	v_fmac_f32_e32 v7, v16, v14
	v_cvt_f32_f64_e32 v12, v[12:13]
	v_cvt_f32_f64_e32 v13, v[10:11]
	v_mad_u64_u32 v[10:11], s[6:7], s4, v21, v[8:9]
	v_cvt_f64_f32_e32 v[8:9], v7
	v_mul_f32_e32 v7, v17, v14
	v_add_u32_e32 v11, s3, v11
	v_mul_f64 v[8:9], v[8:9], s[0:1]
	v_fma_f32 v7, v16, v15, -v7
	global_store_dwordx2 v[10:11], v[12:13], off
	v_cvt_f32_f64_e32 v12, v[8:9]
	v_cvt_f64_f32_e32 v[8:9], v7
	v_mul_f64 v[8:9], v[8:9], s[0:1]
	v_cvt_f32_f64_e32 v13, v[8:9]
	ds_read2_b64 v[6:9], v6 offset0:80 offset1:132
	v_mad_u64_u32 v[14:15], s[6:7], s4, v20, v[10:11]
	v_add_u32_e32 v15, s2, v15
	global_store_dwordx2 v[14:15], v[12:13], off
	v_accvgpr_read_b32 v12, a50
	v_accvgpr_read_b32 v13, a51
	s_waitcnt lgkmcnt(0)
	v_mul_f32_e32 v10, v13, v7
	v_fmac_f32_e32 v10, v12, v6
	v_mul_f32_e32 v6, v13, v6
	v_cvt_f64_f32_e32 v[10:11], v10
	v_fma_f32 v6, v12, v7, -v6
	v_mul_f64 v[10:11], v[10:11], s[0:1]
	v_cvt_f64_f32_e32 v[6:7], v6
	v_cvt_f32_f64_e32 v16, v[10:11]
	v_mul_f64 v[6:7], v[6:7], s[0:1]
	ds_read2_b64 v[10:13], v5 offset0:64 offset1:116
	v_cvt_f32_f64_e32 v17, v[6:7]
	v_mad_u64_u32 v[6:7], s[6:7], s4, v21, v[14:15]
	v_add_u32_e32 v7, s3, v7
	global_store_dwordx2 v[6:7], v[16:17], off
	v_accvgpr_read_b32 v16, a48
	v_accvgpr_read_b32 v17, a49
	s_waitcnt lgkmcnt(0)
	v_mul_f32_e32 v14, v17, v11
	v_fmac_f32_e32 v14, v16, v10
	v_mul_f32_e32 v10, v17, v10
	v_fma_f32 v10, v16, v11, -v10
	v_cvt_f64_f32_e32 v[14:15], v14
	v_cvt_f64_f32_e32 v[10:11], v10
	v_mul_f64 v[14:15], v[14:15], s[0:1]
	v_mul_f64 v[10:11], v[10:11], s[0:1]
	v_accvgpr_read_b32 v17, a9
	v_cvt_f32_f64_e32 v14, v[14:15]
	v_cvt_f32_f64_e32 v15, v[10:11]
	v_mad_u64_u32 v[10:11], s[6:7], s4, v17, 0
	v_mov_b32_e32 v16, v11
	v_mad_u64_u32 v[16:17], s[6:7], s5, v17, v[16:17]
	v_mov_b32_e32 v11, v16
	v_lshl_add_u64 v[0:1], v[10:11], 3, v[0:1]
	v_accvgpr_read_b32 v10, a46
	v_accvgpr_read_b32 v11, a47
	global_store_dwordx2 v[0:1], v[14:15], off
	v_mul_f32_e32 v0, v11, v9
	v_fmac_f32_e32 v0, v10, v8
	v_cvt_f64_f32_e32 v[0:1], v0
	v_mul_f64 v[0:1], v[0:1], s[0:1]
	v_cvt_f32_f64_e32 v0, v[0:1]
	v_mul_f32_e32 v1, v11, v8
	v_fma_f32 v1, v10, v9, -v1
	v_cvt_f64_f32_e32 v[8:9], v1
	v_mul_f64 v[8:9], v[8:9], s[0:1]
	v_cvt_f32_f64_e32 v1, v[8:9]
	v_mov_b32_e32 v8, 0x1a0
	v_mad_u64_u32 v[10:11], s[6:7], s4, v8, v[6:7]
	s_mulk_i32 s5, 0x1a0
	v_accvgpr_read_b32 v6, a6
	v_add_u32_e32 v11, s5, v11
	v_accvgpr_read_b32 v7, a7
	global_store_dwordx2 v[10:11], v[0:1], off
	v_mul_f32_e32 v0, v7, v13
	v_fmac_f32_e32 v0, v6, v12
	v_cvt_f64_f32_e32 v[0:1], v0
	v_mul_f64 v[0:1], v[0:1], s[0:1]
	v_cvt_f32_f64_e32 v0, v[0:1]
	v_mul_f32_e32 v1, v7, v12
	v_fma_f32 v1, v6, v13, -v1
	v_cvt_f64_f32_e32 v[6:7], v1
	v_mul_f64 v[6:7], v[6:7], s[0:1]
	v_cvt_f32_f64_e32 v1, v[6:7]
	ds_read2_b64 v[6:9], v4 offset0:56 offset1:108
	v_mad_u64_u32 v[14:15], s[6:7], s4, v20, v[10:11]
	v_accvgpr_read_b32 v10, a44
	v_add_u32_e32 v15, s2, v15
	v_accvgpr_read_b32 v11, a45
	global_store_dwordx2 v[14:15], v[0:1], off
	s_waitcnt lgkmcnt(0)
	v_mul_f32_e32 v0, v11, v7
	v_fmac_f32_e32 v0, v10, v6
	v_cvt_f64_f32_e32 v[0:1], v0
	v_mul_f64 v[0:1], v[0:1], s[0:1]
	v_cvt_f32_f64_e32 v0, v[0:1]
	v_mul_f32_e32 v1, v11, v6
	v_fma_f32 v1, v10, v7, -v1
	ds_read2_b64 v[10:13], v5 offset0:168 offset1:220
	v_cvt_f64_f32_e32 v[6:7], v1
	v_mul_f64 v[6:7], v[6:7], s[0:1]
	v_cvt_f32_f64_e32 v1, v[6:7]
	v_mad_u64_u32 v[6:7], s[6:7], s4, v21, v[14:15]
	v_add_u32_e32 v7, s3, v7
	v_accvgpr_read_b32 v15, a5
	global_store_dwordx2 v[6:7], v[0:1], off
	v_accvgpr_read_b32 v14, a4
	s_waitcnt lgkmcnt(0)
	v_mul_f32_e32 v0, v15, v11
	v_fmac_f32_e32 v0, v14, v10
	v_cvt_f64_f32_e32 v[0:1], v0
	v_mul_f64 v[0:1], v[0:1], s[0:1]
	v_cvt_f32_f64_e32 v0, v[0:1]
	v_mul_f32_e32 v1, v15, v10
	v_fma_f32 v1, v14, v11, -v1
	v_cvt_f64_f32_e32 v[10:11], v1
	v_mul_f64 v[10:11], v[10:11], s[0:1]
	v_cvt_f32_f64_e32 v1, v[10:11]
	v_mad_u64_u32 v[6:7], s[6:7], s4, v20, v[6:7]
	v_accvgpr_read_b32 v10, a42
	v_add_u32_e32 v7, s2, v7
	v_accvgpr_read_b32 v11, a43
	global_store_dwordx2 v[6:7], v[0:1], off
	v_mul_f32_e32 v0, v11, v9
	v_fmac_f32_e32 v0, v10, v8
	v_cvt_f64_f32_e32 v[0:1], v0
	v_mul_f64 v[0:1], v[0:1], s[0:1]
	v_cvt_f32_f64_e32 v0, v[0:1]
	v_mul_f32_e32 v1, v11, v8
	v_fma_f32 v1, v10, v9, -v1
	v_cvt_f64_f32_e32 v[8:9], v1
	v_mul_f64 v[8:9], v[8:9], s[0:1]
	v_cvt_f32_f64_e32 v1, v[8:9]
	v_mad_u64_u32 v[8:9], s[6:7], s4, v21, v[6:7]
	v_accvgpr_read_b32 v6, a40
	v_add_u32_e32 v9, s3, v9
	v_accvgpr_read_b32 v7, a41
	global_store_dwordx2 v[8:9], v[0:1], off
	v_mul_f32_e32 v0, v7, v13
	v_fmac_f32_e32 v0, v6, v12
	v_cvt_f64_f32_e32 v[0:1], v0
	v_mul_f64 v[0:1], v[0:1], s[0:1]
	v_cvt_f32_f64_e32 v0, v[0:1]
	v_mul_f32_e32 v1, v7, v12
	v_fma_f32 v1, v6, v13, -v1
	v_cvt_f64_f32_e32 v[6:7], v1
	v_mul_f64 v[6:7], v[6:7], s[0:1]
	v_cvt_f32_f64_e32 v1, v[6:7]
	ds_read2_b64 v[4:7], v4 offset0:160 offset1:212
	v_mad_u64_u32 v[12:13], s[6:7], s4, v20, v[8:9]
	v_accvgpr_read_b32 v8, a38
	v_add_u32_e32 v13, s2, v13
	v_accvgpr_read_b32 v9, a39
	global_store_dwordx2 v[12:13], v[0:1], off
	s_waitcnt lgkmcnt(0)
	v_mul_f32_e32 v0, v9, v5
	v_fmac_f32_e32 v0, v8, v4
	v_cvt_f64_f32_e32 v[0:1], v0
	v_mul_f64 v[0:1], v[0:1], s[0:1]
	v_cvt_f32_f64_e32 v0, v[0:1]
	v_mul_f32_e32 v1, v9, v4
	v_fma_f32 v1, v8, v5, -v1
	ds_read2_b64 v[8:11], v2 offset0:16 offset1:68
	v_cvt_f64_f32_e32 v[4:5], v1
	v_mul_f64 v[4:5], v[4:5], s[0:1]
	v_cvt_f32_f64_e32 v1, v[4:5]
	v_mad_u64_u32 v[4:5], s[6:7], s4, v21, v[12:13]
	v_accvgpr_read_b32 v12, a36
	v_add_u32_e32 v5, s3, v5
	v_accvgpr_read_b32 v13, a37
	global_store_dwordx2 v[4:5], v[0:1], off
	s_waitcnt lgkmcnt(0)
	v_mul_f32_e32 v0, v13, v9
	v_fmac_f32_e32 v0, v12, v8
	v_cvt_f64_f32_e32 v[0:1], v0
	v_mul_f64 v[0:1], v[0:1], s[0:1]
	v_cvt_f32_f64_e32 v0, v[0:1]
	v_mul_f32_e32 v1, v13, v8
	v_fma_f32 v1, v12, v9, -v1
	v_cvt_f64_f32_e32 v[8:9], v1
	v_mul_f64 v[8:9], v[8:9], s[0:1]
	v_cvt_f32_f64_e32 v1, v[8:9]
	v_mad_u64_u32 v[4:5], s[6:7], s4, v20, v[4:5]
	v_accvgpr_read_b32 v8, a34
	v_add_u32_e32 v5, s2, v5
	v_accvgpr_read_b32 v9, a35
	global_store_dwordx2 v[4:5], v[0:1], off
	v_mul_f32_e32 v0, v9, v7
	v_fmac_f32_e32 v0, v8, v6
	v_cvt_f64_f32_e32 v[0:1], v0
	v_mul_f64 v[0:1], v[0:1], s[0:1]
	v_cvt_f32_f64_e32 v0, v[0:1]
	v_mul_f32_e32 v1, v9, v6
	v_fma_f32 v1, v8, v7, -v1
	v_cvt_f64_f32_e32 v[6:7], v1
	v_mul_f64 v[6:7], v[6:7], s[0:1]
	v_mad_u64_u32 v[8:9], s[6:7], s4, v21, v[4:5]
	v_accvgpr_read_b32 v4, a32
	v_cvt_f32_f64_e32 v1, v[6:7]
	v_add_u32_e32 v9, s3, v9
	v_accvgpr_read_b32 v5, a33
	global_store_dwordx2 v[8:9], v[0:1], off
	v_mul_f32_e32 v0, v5, v11
	v_fmac_f32_e32 v0, v4, v10
	v_cvt_f64_f32_e32 v[0:1], v0
	v_mul_f64 v[0:1], v[0:1], s[0:1]
	v_cvt_f32_f64_e32 v0, v[0:1]
	v_mul_f32_e32 v1, v5, v10
	v_fma_f32 v1, v4, v11, -v1
	v_cvt_f64_f32_e32 v[4:5], v1
	v_mul_f64 v[4:5], v[4:5], s[0:1]
	v_cvt_f32_f64_e32 v1, v[4:5]
	ds_read2_b64 v[4:7], v3 offset0:8 offset1:60
	v_mad_u64_u32 v[8:9], s[6:7], s4, v20, v[8:9]
	v_add_u32_e32 v9, s2, v9
	v_accvgpr_read_b32 v13, a3
	global_store_dwordx2 v[8:9], v[0:1], off
	v_accvgpr_read_b32 v12, a2
	s_waitcnt lgkmcnt(0)
	v_mul_f32_e32 v0, v13, v5
	v_fmac_f32_e32 v0, v12, v4
	v_cvt_f64_f32_e32 v[0:1], v0
	v_mul_f64 v[0:1], v[0:1], s[0:1]
	v_cvt_f32_f64_e32 v10, v[0:1]
	v_mul_f32_e32 v0, v13, v4
	v_fma_f32 v0, v12, v5, -v0
	v_cvt_f64_f32_e32 v[0:1], v0
	v_mul_f64 v[0:1], v[0:1], s[0:1]
	v_cvt_f32_f64_e32 v11, v[0:1]
	ds_read2_b64 v[0:3], v2 offset0:120 offset1:172
	v_mad_u64_u32 v[4:5], s[6:7], s4, v21, v[8:9]
	v_add_u32_e32 v5, s3, v5
	global_store_dwordx2 v[4:5], v[10:11], off
	v_accvgpr_read_b32 v10, a28
	v_accvgpr_read_b32 v11, a29
	s_waitcnt lgkmcnt(0)
	v_mul_f32_e32 v8, v11, v1
	v_fmac_f32_e32 v8, v10, v0
	v_mul_f32_e32 v0, v11, v0
	v_fma_f32 v0, v10, v1, -v0
	v_cvt_f64_f32_e32 v[8:9], v8
	v_cvt_f64_f32_e32 v[0:1], v0
	v_mul_f64 v[8:9], v[8:9], s[0:1]
	v_mul_f64 v[0:1], v[0:1], s[0:1]
	v_cvt_f32_f64_e32 v8, v[8:9]
	v_cvt_f32_f64_e32 v9, v[0:1]
	v_mad_u64_u32 v[0:1], s[6:7], s4, v20, v[4:5]
	v_add_u32_e32 v1, s2, v1
	global_store_dwordx2 v[0:1], v[8:9], off
	v_accvgpr_read_b32 v9, a1
	v_accvgpr_read_b32 v8, a0
	v_mul_f32_e32 v4, v9, v7
	v_fmac_f32_e32 v4, v8, v6
	v_cvt_f64_f32_e32 v[4:5], v4
	v_mul_f64 v[4:5], v[4:5], s[0:1]
	v_cvt_f32_f64_e32 v4, v[4:5]
	v_mul_f32_e32 v5, v9, v6
	v_fma_f32 v5, v8, v7, -v5
	v_cvt_f64_f32_e32 v[6:7], v5
	v_mul_f64 v[6:7], v[6:7], s[0:1]
	v_cvt_f32_f64_e32 v5, v[6:7]
	v_mad_u64_u32 v[0:1], s[6:7], s4, v21, v[0:1]
	v_accvgpr_read_b32 v6, a20
	v_add_u32_e32 v1, s3, v1
	v_accvgpr_read_b32 v7, a21
	global_store_dwordx2 v[0:1], v[4:5], off
	v_mul_f32_e32 v4, v7, v3
	v_fmac_f32_e32 v4, v6, v2
	v_mul_f32_e32 v2, v7, v2
	v_fma_f32 v2, v6, v3, -v2
	v_cvt_f64_f32_e32 v[4:5], v4
	v_cvt_f64_f32_e32 v[2:3], v2
	v_mul_f64 v[4:5], v[4:5], s[0:1]
	v_mul_f64 v[2:3], v[2:3], s[0:1]
	v_mad_u64_u32 v[0:1], s[0:1], s4, v20, v[0:1]
	v_cvt_f32_f64_e32 v4, v[4:5]
	v_cvt_f32_f64_e32 v5, v[2:3]
	v_add_u32_e32 v1, s2, v1
	global_store_dwordx2 v[0:1], v[4:5], off
.LBB0_10:
	s_endpgm
	.section	.rodata,"a",@progbits
	.p2align	6, 0x0
	.amdhsa_kernel bluestein_single_fwd_len1248_dim1_sp_op_CI_CI
		.amdhsa_group_segment_fixed_size 9984
		.amdhsa_private_segment_fixed_size 0
		.amdhsa_kernarg_size 104
		.amdhsa_user_sgpr_count 2
		.amdhsa_user_sgpr_dispatch_ptr 0
		.amdhsa_user_sgpr_queue_ptr 0
		.amdhsa_user_sgpr_kernarg_segment_ptr 1
		.amdhsa_user_sgpr_dispatch_id 0
		.amdhsa_user_sgpr_kernarg_preload_length 0
		.amdhsa_user_sgpr_kernarg_preload_offset 0
		.amdhsa_user_sgpr_private_segment_size 0
		.amdhsa_uses_dynamic_stack 0
		.amdhsa_enable_private_segment 0
		.amdhsa_system_sgpr_workgroup_id_x 1
		.amdhsa_system_sgpr_workgroup_id_y 0
		.amdhsa_system_sgpr_workgroup_id_z 0
		.amdhsa_system_sgpr_workgroup_info 0
		.amdhsa_system_vgpr_workitem_id 0
		.amdhsa_next_free_vgpr 400
		.amdhsa_next_free_sgpr 54
		.amdhsa_accum_offset 256
		.amdhsa_reserve_vcc 1
		.amdhsa_float_round_mode_32 0
		.amdhsa_float_round_mode_16_64 0
		.amdhsa_float_denorm_mode_32 3
		.amdhsa_float_denorm_mode_16_64 3
		.amdhsa_dx10_clamp 1
		.amdhsa_ieee_mode 1
		.amdhsa_fp16_overflow 0
		.amdhsa_tg_split 0
		.amdhsa_exception_fp_ieee_invalid_op 0
		.amdhsa_exception_fp_denorm_src 0
		.amdhsa_exception_fp_ieee_div_zero 0
		.amdhsa_exception_fp_ieee_overflow 0
		.amdhsa_exception_fp_ieee_underflow 0
		.amdhsa_exception_fp_ieee_inexact 0
		.amdhsa_exception_int_div_zero 0
	.end_amdhsa_kernel
	.text
.Lfunc_end0:
	.size	bluestein_single_fwd_len1248_dim1_sp_op_CI_CI, .Lfunc_end0-bluestein_single_fwd_len1248_dim1_sp_op_CI_CI
                                        ; -- End function
	.section	.AMDGPU.csdata,"",@progbits
; Kernel info:
; codeLenInByte = 31740
; NumSgprs: 60
; NumVgprs: 256
; NumAgprs: 144
; TotalNumVgprs: 400
; ScratchSize: 0
; MemoryBound: 0
; FloatMode: 240
; IeeeMode: 1
; LDSByteSize: 9984 bytes/workgroup (compile time only)
; SGPRBlocks: 7
; VGPRBlocks: 49
; NumSGPRsForWavesPerEU: 60
; NumVGPRsForWavesPerEU: 400
; AccumOffset: 256
; Occupancy: 1
; WaveLimiterHint : 1
; COMPUTE_PGM_RSRC2:SCRATCH_EN: 0
; COMPUTE_PGM_RSRC2:USER_SGPR: 2
; COMPUTE_PGM_RSRC2:TRAP_HANDLER: 0
; COMPUTE_PGM_RSRC2:TGID_X_EN: 1
; COMPUTE_PGM_RSRC2:TGID_Y_EN: 0
; COMPUTE_PGM_RSRC2:TGID_Z_EN: 0
; COMPUTE_PGM_RSRC2:TIDIG_COMP_CNT: 0
; COMPUTE_PGM_RSRC3_GFX90A:ACCUM_OFFSET: 63
; COMPUTE_PGM_RSRC3_GFX90A:TG_SPLIT: 0
	.text
	.p2alignl 6, 3212836864
	.fill 256, 4, 3212836864
	.type	__hip_cuid_89a387363b724f0f,@object ; @__hip_cuid_89a387363b724f0f
	.section	.bss,"aw",@nobits
	.globl	__hip_cuid_89a387363b724f0f
__hip_cuid_89a387363b724f0f:
	.byte	0                               ; 0x0
	.size	__hip_cuid_89a387363b724f0f, 1

	.ident	"AMD clang version 19.0.0git (https://github.com/RadeonOpenCompute/llvm-project roc-6.4.0 25133 c7fe45cf4b819c5991fe208aaa96edf142730f1d)"
	.section	".note.GNU-stack","",@progbits
	.addrsig
	.addrsig_sym __hip_cuid_89a387363b724f0f
	.amdgpu_metadata
---
amdhsa.kernels:
  - .agpr_count:     144
    .args:
      - .actual_access:  read_only
        .address_space:  global
        .offset:         0
        .size:           8
        .value_kind:     global_buffer
      - .actual_access:  read_only
        .address_space:  global
        .offset:         8
        .size:           8
        .value_kind:     global_buffer
      - .actual_access:  read_only
        .address_space:  global
        .offset:         16
        .size:           8
        .value_kind:     global_buffer
      - .actual_access:  read_only
        .address_space:  global
        .offset:         24
        .size:           8
        .value_kind:     global_buffer
      - .actual_access:  read_only
        .address_space:  global
        .offset:         32
        .size:           8
        .value_kind:     global_buffer
      - .offset:         40
        .size:           8
        .value_kind:     by_value
      - .address_space:  global
        .offset:         48
        .size:           8
        .value_kind:     global_buffer
      - .address_space:  global
        .offset:         56
        .size:           8
        .value_kind:     global_buffer
      - .address_space:  global
        .offset:         64
        .size:           8
        .value_kind:     global_buffer
      - .address_space:  global
        .offset:         72
        .size:           8
        .value_kind:     global_buffer
      - .offset:         80
        .size:           4
        .value_kind:     by_value
      - .address_space:  global
        .offset:         88
        .size:           8
        .value_kind:     global_buffer
      - .address_space:  global
        .offset:         96
        .size:           8
        .value_kind:     global_buffer
    .group_segment_fixed_size: 9984
    .kernarg_segment_align: 8
    .kernarg_segment_size: 104
    .language:       OpenCL C
    .language_version:
      - 2
      - 0
    .max_flat_workgroup_size: 52
    .name:           bluestein_single_fwd_len1248_dim1_sp_op_CI_CI
    .private_segment_fixed_size: 0
    .sgpr_count:     60
    .sgpr_spill_count: 0
    .symbol:         bluestein_single_fwd_len1248_dim1_sp_op_CI_CI.kd
    .uniform_work_group_size: 1
    .uses_dynamic_stack: false
    .vgpr_count:     400
    .vgpr_spill_count: 0
    .wavefront_size: 64
amdhsa.target:   amdgcn-amd-amdhsa--gfx950
amdhsa.version:
  - 1
  - 2
...

	.end_amdgpu_metadata
